;; amdgpu-corpus repo=ROCm/rocFFT kind=compiled arch=gfx1201 opt=O3
	.text
	.amdgcn_target "amdgcn-amd-amdhsa--gfx1201"
	.amdhsa_code_object_version 6
	.protected	bluestein_single_back_len630_dim1_sp_op_CI_CI ; -- Begin function bluestein_single_back_len630_dim1_sp_op_CI_CI
	.globl	bluestein_single_back_len630_dim1_sp_op_CI_CI
	.p2align	8
	.type	bluestein_single_back_len630_dim1_sp_op_CI_CI,@function
bluestein_single_back_len630_dim1_sp_op_CI_CI: ; @bluestein_single_back_len630_dim1_sp_op_CI_CI
; %bb.0:
	s_load_b128 s[8:11], s[0:1], 0x28
	v_mul_u32_u24_e32 v1, 0x411, v0
	s_mov_b32 s2, exec_lo
	v_mov_b32_e32 v83, 0
	s_delay_alu instid0(VALU_DEP_2) | instskip(NEXT) | instid1(VALU_DEP_1)
	v_lshrrev_b32_e32 v1, 16, v1
	v_add_nc_u32_e32 v82, ttmp9, v1
	s_wait_kmcnt 0x0
	s_delay_alu instid0(VALU_DEP_1)
	v_cmpx_gt_u64_e64 s[8:9], v[82:83]
	s_cbranch_execz .LBB0_31
; %bb.1:
	s_clause 0x1
	s_load_b128 s[4:7], s[0:1], 0x18
	s_load_b64 s[16:17], s[0:1], 0x0
	v_mul_lo_u16 v1, v1, 63
	s_movk_i32 s2, 0xfe9b
	s_mov_b32 s3, -1
	s_delay_alu instid0(VALU_DEP_1) | instskip(NEXT) | instid1(VALU_DEP_1)
	v_sub_nc_u16 v27, v0, v1
	v_and_b32_e32 v116, 0xffff, v27
	s_wait_kmcnt 0x0
	s_load_b128 s[12:15], s[4:5], 0x0
	s_wait_kmcnt 0x0
	v_mad_co_u64_u32 v[0:1], null, s14, v82, 0
	v_mad_co_u64_u32 v[2:3], null, s12, v116, 0
	s_mul_u64 s[4:5], s[12:13], 0xd2
	s_mul_u64 s[2:3], s[12:13], s[2:3]
	s_delay_alu instid0(SALU_CYCLE_1) | instskip(NEXT) | instid1(VALU_DEP_1)
	s_lshl_b64 s[2:3], s[2:3], 3
	v_mad_co_u64_u32 v[4:5], null, s15, v82, v[1:2]
	s_delay_alu instid0(VALU_DEP_1) | instskip(NEXT) | instid1(VALU_DEP_3)
	v_mov_b32_e32 v1, v4
	v_mad_co_u64_u32 v[5:6], null, s13, v116, v[3:4]
	v_lshlrev_b32_e32 v115, 3, v116
	s_clause 0x2
	global_load_b64 v[101:102], v115, s[16:17]
	global_load_b64 v[95:96], v115, s[16:17] offset:504
	global_load_b64 v[85:86], v115, s[16:17] offset:2184
	v_mov_b32_e32 v3, v5
	v_lshlrev_b64_e32 v[0:1], 3, v[0:1]
	s_clause 0x3
	global_load_b64 v[97:98], v115, s[16:17] offset:3360
	global_load_b64 v[89:90], v115, s[16:17] offset:3864
	;; [unrolled: 1-line block ×4, first 2 shown]
	v_lshlrev_b64_e32 v[2:3], 3, v[2:3]
	v_add_co_u32 v0, vcc_lo, s10, v0
	v_add_co_ci_u32_e32 v1, vcc_lo, s11, v1, vcc_lo
	s_lshl_b64 s[10:11], s[4:5], 3
	s_delay_alu instid0(VALU_DEP_2) | instskip(SKIP_1) | instid1(VALU_DEP_2)
	v_add_co_u32 v0, vcc_lo, v0, v2
	s_wait_alu 0xfffd
	v_add_co_ci_u32_e32 v1, vcc_lo, v1, v3, vcc_lo
	s_wait_alu 0xfffe
	s_delay_alu instid0(VALU_DEP_2) | instskip(SKIP_1) | instid1(VALU_DEP_2)
	v_add_co_u32 v2, vcc_lo, v0, s10
	s_wait_alu 0xfffd
	v_add_co_ci_u32_e32 v3, vcc_lo, s11, v1, vcc_lo
	s_delay_alu instid0(VALU_DEP_2) | instskip(SKIP_1) | instid1(VALU_DEP_2)
	v_add_co_u32 v4, vcc_lo, v2, s10
	s_wait_alu 0xfffd
	v_add_co_ci_u32_e32 v5, vcc_lo, s11, v3, vcc_lo
	;; [unrolled: 4-line block ×3, first 2 shown]
	s_clause 0x2
	global_load_b64 v[9:10], v[0:1], off
	global_load_b64 v[2:3], v[2:3], off
	global_load_b64 v[4:5], v[4:5], off
	v_add_co_u32 v0, vcc_lo, v6, s10
	s_wait_alu 0xfffd
	v_add_co_ci_u32_e32 v1, vcc_lo, s11, v7, vcc_lo
	global_load_b64 v[6:7], v[6:7], off
	v_add_co_u32 v11, vcc_lo, v0, s10
	global_load_b64 v[13:14], v[0:1], off
	s_wait_alu 0xfffd
	v_add_co_ci_u32_e32 v12, vcc_lo, s11, v1, vcc_lo
	v_add_co_u32 v0, vcc_lo, v11, s2
	s_wait_alu 0xfffd
	s_delay_alu instid0(VALU_DEP_2) | instskip(NEXT) | instid1(VALU_DEP_2)
	v_add_co_ci_u32_e32 v1, vcc_lo, s3, v12, vcc_lo
	v_add_co_u32 v15, vcc_lo, v0, s10
	global_load_b64 v[11:12], v[11:12], off
	s_wait_alu 0xfffd
	v_add_co_ci_u32_e32 v16, vcc_lo, s11, v1, vcc_lo
	global_load_b64 v[17:18], v[0:1], off
	v_add_co_u32 v0, vcc_lo, v15, s10
	s_wait_alu 0xfffd
	v_add_co_ci_u32_e32 v1, vcc_lo, s11, v16, vcc_lo
	v_cmp_gt_u16_e32 vcc_lo, 21, v27
	s_wait_loadcnt 0x6
	v_mul_f32_e32 v22, v9, v102
	global_load_b64 v[91:92], v115, s[16:17] offset:2688
	global_load_b64 v[15:16], v[15:16], off
	global_load_b64 v[93:94], v115, s[16:17] offset:4368
	global_load_b64 v[19:20], v[0:1], off
	s_wait_loadcnt 0x8
	v_dual_mul_f32 v23, v3, v100 :: v_dual_mul_f32 v26, v4, v98
	v_dual_mul_f32 v24, v2, v100 :: v_dual_mul_f32 v25, v5, v98
	s_load_b64 s[8:9], s[0:1], 0x38
	s_load_b128 s[4:7], s[6:7], 0x0
	v_mul_f32_e32 v21, v10, v102
	v_fmac_f32_e32 v23, v2, v99
	v_fma_f32 v24, v3, v99, -v24
	s_wait_loadcnt 0x6
	v_dual_fmac_f32 v25, v4, v97 :: v_dual_mul_f32 v4, v14, v86
	v_mul_f32_e32 v2, v7, v96
	v_mul_f32_e32 v3, v6, v96
	v_fmac_f32_e32 v21, v9, v101
	v_fma_f32 v26, v5, v97, -v26
	v_fmac_f32_e32 v4, v13, v85
	v_fmac_f32_e32 v2, v6, v95
	v_fma_f32 v3, v7, v95, -v3
	v_fma_f32 v22, v10, v101, -v22
	s_wait_loadcnt 0x5
	v_mul_f32_e32 v6, v12, v90
	v_mul_f32_e32 v5, v13, v86
	s_wait_loadcnt 0x4
	v_dual_mul_f32 v7, v11, v90 :: v_dual_mul_f32 v10, v17, v88
	s_delay_alu instid0(VALU_DEP_3) | instskip(NEXT) | instid1(VALU_DEP_3)
	v_dual_mul_f32 v9, v18, v88 :: v_dual_fmac_f32 v6, v11, v89
	v_fma_f32 v5, v14, v85, -v5
	s_delay_alu instid0(VALU_DEP_3)
	v_fma_f32 v7, v12, v89, -v7
	v_add_co_u32 v83, s12, s16, v115
	s_wait_alu 0xf1ff
	v_add_co_ci_u32_e64 v84, null, s17, 0, s12
	v_add_nc_u32_e32 v8, 0x800, v115
	v_fma_f32 v10, v18, v87, -v10
	ds_store_b64 v115, v[23:24] offset:1680
	ds_store_b64 v115, v[25:26] offset:3360
	s_wait_loadcnt 0x2
	v_mul_f32_e32 v11, v16, v92
	v_mul_f32_e32 v12, v15, v92
	s_wait_loadcnt 0x0
	v_dual_mul_f32 v14, v19, v94 :: v_dual_fmac_f32 v9, v17, v87
	v_mul_f32_e32 v13, v20, v94
	v_fmac_f32_e32 v11, v15, v91
	v_fma_f32 v12, v16, v91, -v12
	s_delay_alu instid0(VALU_DEP_4)
	v_fma_f32 v14, v20, v93, -v14
	v_add_nc_u32_e32 v15, 0xc00, v115
	v_fmac_f32_e32 v13, v19, v93
	ds_store_2addr_b64 v115, v[21:22], v[2:3] offset1:63
	ds_store_b64 v115, v[9:10] offset:1008
	ds_store_2addr_b64 v8, v[4:5], v[11:12] offset0:17 offset1:80
	ds_store_2addr_b64 v15, v[6:7], v[13:14] offset0:99 offset1:162
	s_and_saveexec_b32 s12, vcc_lo
	s_cbranch_execz .LBB0_3
; %bb.2:
	v_add_co_u32 v0, s2, v0, s2
	s_wait_alu 0xf1ff
	v_add_co_ci_u32_e64 v1, s2, s3, v1, s2
	global_load_b64 v[4:5], v[83:84], off offset:1512
	global_load_b64 v[2:3], v[0:1], off
	v_add_co_u32 v0, s2, v0, s10
	s_wait_alu 0xf1ff
	v_add_co_ci_u32_e64 v1, s2, s11, v1, s2
	v_add_nc_u32_e32 v15, 0x500, v115
	s_delay_alu instid0(VALU_DEP_3) | instskip(SKIP_1) | instid1(VALU_DEP_3)
	v_add_co_u32 v6, s2, v0, s10
	s_wait_alu 0xf1ff
	v_add_co_ci_u32_e64 v7, s2, s11, v1, s2
	global_load_b64 v[0:1], v[0:1], off
	s_clause 0x1
	global_load_b64 v[9:10], v[83:84], off offset:3192
	global_load_b64 v[11:12], v[83:84], off offset:4872
	global_load_b64 v[6:7], v[6:7], off
	s_wait_loadcnt 0x4
	v_mul_f32_e32 v14, v2, v5
	v_mul_f32_e32 v13, v3, v5
	s_delay_alu instid0(VALU_DEP_2) | instskip(SKIP_1) | instid1(VALU_DEP_2)
	v_fma_f32 v14, v3, v4, -v14
	s_wait_loadcnt 0x2
	v_dual_fmac_f32 v13, v2, v4 :: v_dual_mul_f32 v2, v1, v10
	s_wait_loadcnt 0x0
	v_dual_mul_f32 v10, v0, v10 :: v_dual_mul_f32 v5, v7, v12
	v_mul_f32_e32 v12, v6, v12
	s_delay_alu instid0(VALU_DEP_3) | instskip(NEXT) | instid1(VALU_DEP_3)
	v_fmac_f32_e32 v2, v0, v9
	v_fma_f32 v3, v1, v9, -v10
	s_delay_alu instid0(VALU_DEP_4) | instskip(NEXT) | instid1(VALU_DEP_4)
	v_fmac_f32_e32 v5, v6, v11
	v_fma_f32 v6, v7, v11, -v12
	ds_store_2addr_b64 v15, v[13:14], v[2:3] offset0:29 offset1:239
	ds_store_b64 v115, v[5:6] offset:4872
.LBB0_3:
	s_wait_alu 0xfffe
	s_or_b32 exec_lo, exec_lo, s12
	global_wb scope:SCOPE_SE
	s_wait_dscnt 0x0
	s_wait_kmcnt 0x0
	s_barrier_signal -1
	s_barrier_wait -1
	global_inv scope:SCOPE_SE
	ds_load_2addr_b64 v[0:3], v115 offset1:63
	ds_load_2addr_b64 v[4:7], v115 offset0:126 offset1:210
	ds_load_2addr_b64 v[16:19], v8 offset0:164 offset1:227
	;; [unrolled: 1-line block ×3, first 2 shown]
	ds_load_b64 v[22:23], v115 offset:4368
                                        ; implicit-def: $vgpr10
                                        ; implicit-def: $vgpr20
	s_and_saveexec_b32 s2, vcc_lo
	s_cbranch_execz .LBB0_5
; %bb.4:
	v_add_nc_u32_e32 v8, 0x500, v115
	ds_load_2addr_b64 v[8:11], v8 offset0:29 offset1:239
	ds_load_b64 v[20:21], v115 offset:4872
.LBB0_5:
	s_wait_alu 0xfffe
	s_or_b32 exec_lo, exec_lo, s2
	s_load_b64 s[2:3], s[0:1], 0x8
	v_add_co_u32 v28, s0, 0x7e, v116
	s_wait_alu 0xf1ff
	v_add_co_ci_u32_e64 v24, null, 0, 0, s0
	s_wait_dscnt 0x2
	v_dual_add_f32 v24, v6, v16 :: v_dual_add_f32 v25, v0, v6
	v_add_f32_e32 v26, v7, v17
	v_sub_f32_e32 v27, v7, v17
	v_add_f32_e32 v7, v1, v7
	s_delay_alu instid0(VALU_DEP_4) | instskip(SKIP_2) | instid1(VALU_DEP_4)
	v_fma_f32 v0, -0.5, v24, v0
	v_add_f32_e32 v24, v25, v16
	v_fma_f32 v1, -0.5, v26, v1
	v_dual_sub_f32 v16, v6, v16 :: v_dual_add_f32 v25, v7, v17
	s_wait_dscnt 0x1
	v_dual_fmamk_f32 v6, v27, 0x3f5db3d7, v0 :: v_dual_add_f32 v17, v12, v18
	s_delay_alu instid0(VALU_DEP_2) | instskip(SKIP_1) | instid1(VALU_DEP_3)
	v_dual_fmac_f32 v0, 0xbf5db3d7, v27 :: v_dual_fmamk_f32 v7, v16, 0xbf5db3d7, v1
	v_dual_add_f32 v26, v2, v12 :: v_dual_add_f32 v27, v13, v19
	v_fma_f32 v2, -0.5, v17, v2
	v_dual_sub_f32 v17, v13, v19 :: v_dual_sub_f32 v12, v12, v18
	v_add_f32_e32 v13, v3, v13
	s_delay_alu instid0(VALU_DEP_4) | instskip(SKIP_1) | instid1(VALU_DEP_4)
	v_fmac_f32_e32 v3, -0.5, v27
	v_dual_fmac_f32 v1, 0x3f5db3d7, v16 :: v_dual_add_f32 v16, v26, v18
	v_fmamk_f32 v18, v17, 0x3f5db3d7, v2
	s_delay_alu instid0(VALU_DEP_4)
	v_dual_fmac_f32 v2, 0xbf5db3d7, v17 :: v_dual_add_f32 v17, v13, v19
	v_add_f32_e32 v26, v4, v14
	s_wait_dscnt 0x0
	v_add_f32_e32 v13, v14, v22
	v_fmamk_f32 v19, v12, 0xbf5db3d7, v3
	v_dual_fmac_f32 v3, 0x3f5db3d7, v12 :: v_dual_add_f32 v12, v15, v23
	v_add_f32_e32 v26, v26, v22
	s_delay_alu instid0(VALU_DEP_4) | instskip(SKIP_4) | instid1(VALU_DEP_4)
	v_fma_f32 v4, -0.5, v13, v4
	v_sub_f32_e32 v13, v15, v23
	v_add_f32_e32 v15, v5, v15
	v_dual_fmac_f32 v5, -0.5, v12 :: v_dual_sub_f32 v12, v14, v22
	v_add_f32_e32 v14, v10, v8
	v_fmamk_f32 v22, v13, 0x3f5db3d7, v4
	v_dual_fmac_f32 v4, 0xbf5db3d7, v13 :: v_dual_add_f32 v13, v10, v20
	v_add_f32_e32 v27, v15, v23
	v_dual_fmamk_f32 v23, v12, 0xbf5db3d7, v5 :: v_dual_sub_f32 v10, v10, v20
	v_dual_fmac_f32 v5, 0x3f5db3d7, v12 :: v_dual_add_f32 v12, v20, v14
	v_mul_lo_u16 v20, v116, 3
	v_add_f32_e32 v15, v11, v21
	v_fmac_f32_e32 v8, -0.5, v13
	v_sub_f32_e32 v13, v11, v21
	v_add_f32_e32 v11, v11, v9
	v_add_co_u32 v105, null, v116, 63
	v_fmac_f32_e32 v9, -0.5, v15
	v_add_co_u32 v29, null, 0xbd, v116
	global_wb scope:SCOPE_SE
	s_wait_kmcnt 0x0
	s_barrier_signal -1
	v_fmamk_f32 v15, v10, 0xbf5db3d7, v9
	v_fmac_f32_e32 v9, 0x3f5db3d7, v10
	v_and_b32_e32 v10, 0xffff, v20
	v_mul_u32_u24_e32 v20, 3, v28
	v_mul_u32_u24_e32 v120, 3, v29
	s_barrier_wait -1
	global_inv scope:SCOPE_SE
	v_lshlrev_b32_e32 v122, 3, v10
	v_fmamk_f32 v14, v13, 0x3f5db3d7, v8
	v_dual_fmac_f32 v8, 0xbf5db3d7, v13 :: v_dual_add_f32 v13, v21, v11
	v_mul_u32_u24_e32 v11, 3, v105
	v_lshlrev_b32_e32 v119, 3, v20
	ds_store_2addr_b64 v122, v[24:25], v[6:7] offset1:1
	ds_store_b64 v122, v[0:1] offset:16
	v_lshlrev_b32_e32 v121, 3, v11
	ds_store_2addr_b64 v121, v[16:17], v[18:19] offset1:1
	ds_store_b64 v121, v[2:3] offset:16
	ds_store_2addr_b64 v119, v[26:27], v[22:23] offset1:1
	ds_store_b64 v119, v[4:5] offset:16
	s_and_saveexec_b32 s0, vcc_lo
	s_cbranch_execz .LBB0_7
; %bb.6:
	v_lshlrev_b32_e32 v0, 3, v120
	ds_store_2addr_b64 v0, v[12:13], v[14:15] offset1:1
	ds_store_b64 v0, v[8:9] offset:16
.LBB0_7:
	s_wait_alu 0xfffe
	s_or_b32 exec_lo, exec_lo, s0
	v_add_nc_u32_e32 v0, 0x800, v115
	global_wb scope:SCOPE_SE
	s_wait_dscnt 0x0
	s_barrier_signal -1
	s_barrier_wait -1
	global_inv scope:SCOPE_SE
	ds_load_2addr_b64 v[24:27], v115 offset1:63
	ds_load_2addr_b64 v[20:23], v115 offset0:126 offset1:210
	ds_load_2addr_b64 v[32:35], v0 offset0:164 offset1:227
	;; [unrolled: 1-line block ×3, first 2 shown]
	ds_load_b64 v[10:11], v115 offset:4368
	s_and_saveexec_b32 s0, vcc_lo
	s_cbranch_execz .LBB0_9
; %bb.8:
	v_add_nc_u32_e32 v0, 0x500, v115
	ds_load_2addr_b64 v[12:15], v0 offset0:29 offset1:239
	ds_load_b64 v[8:9], v115 offset:4872
.LBB0_9:
	s_wait_alu 0xfffe
	s_or_b32 exec_lo, exec_lo, s0
	v_and_b32_e32 v40, 0xff, v116
	v_and_b32_e32 v106, 0xff, v105
	v_and_b32_e32 v1, 0xff, v28
	s_delay_alu instid0(VALU_DEP_3) | instskip(NEXT) | instid1(VALU_DEP_3)
	v_mul_lo_u16 v0, 0xab, v40
	v_mul_lo_u16 v2, 0xab, v106
	s_delay_alu instid0(VALU_DEP_3) | instskip(NEXT) | instid1(VALU_DEP_3)
	v_mul_lo_u16 v1, 0xab, v1
	v_lshrrev_b16 v41, 9, v0
	v_and_b32_e32 v0, 0xff, v29
	s_delay_alu instid0(VALU_DEP_4) | instskip(NEXT) | instid1(VALU_DEP_4)
	v_lshrrev_b16 v42, 9, v2
	v_lshrrev_b16 v43, 9, v1
	s_delay_alu instid0(VALU_DEP_4) | instskip(NEXT) | instid1(VALU_DEP_4)
	v_mul_lo_u16 v2, v41, 3
	v_mul_lo_u16 v0, 0xab, v0
	s_delay_alu instid0(VALU_DEP_4) | instskip(NEXT) | instid1(VALU_DEP_3)
	v_mul_lo_u16 v1, v42, 3
	v_sub_nc_u16 v2, v116, v2
	s_delay_alu instid0(VALU_DEP_3) | instskip(SKIP_1) | instid1(VALU_DEP_4)
	v_lshrrev_b16 v44, 9, v0
	v_mul_lo_u16 v0, v43, 3
	v_sub_nc_u16 v1, v105, v1
	s_delay_alu instid0(VALU_DEP_4) | instskip(NEXT) | instid1(VALU_DEP_4)
	v_and_b32_e32 v45, 0xff, v2
	v_mul_lo_u16 v2, v44, 3
	s_delay_alu instid0(VALU_DEP_4) | instskip(NEXT) | instid1(VALU_DEP_4)
	v_sub_nc_u16 v0, v28, v0
	v_and_b32_e32 v46, 0xff, v1
	v_and_b32_e32 v123, 0xffff, v44
	v_lshlrev_b32_e32 v1, 4, v45
	v_sub_nc_u16 v2, v29, v2
	v_and_b32_e32 v47, 0xff, v0
	v_lshlrev_b32_e32 v0, 4, v46
	global_load_b128 v[28:31], v1, s[2:3]
	v_and_b32_e32 v117, 0xff, v2
	global_load_b128 v[16:19], v0, s[2:3]
	v_lshlrev_b32_e32 v0, 4, v117
	s_wait_loadcnt_dscnt 0x103
	v_mul_f32_e32 v44, v22, v29
	s_wait_loadcnt_dscnt 0x1
	v_dual_mul_f32 v48, v36, v17 :: v_dual_lshlrev_b32 v1, 4, v47
	s_delay_alu instid0(VALU_DEP_2)
	v_fmac_f32_e32 v44, v23, v28
	s_clause 0x1
	global_load_b128 v[4:7], v1, s[2:3]
	global_load_b128 v[0:3], v0, s[2:3]
	v_and_b32_e32 v42, 0xffff, v42
	v_and_b32_e32 v41, 0xffff, v41
	;; [unrolled: 1-line block ×3, first 2 shown]
	v_mul_f32_e32 v49, v35, v19
	v_mul_f32_e32 v50, v34, v19
	global_wb scope:SCOPE_SE
	s_wait_loadcnt_dscnt 0x0
	s_barrier_signal -1
	s_barrier_wait -1
	global_inv scope:SCOPE_SE
	v_mul_f32_e32 v51, v39, v5
	v_mul_u32_u24_e32 v42, 9, v42
	v_mul_f32_e32 v53, v11, v7
	v_mul_f32_e32 v54, v10, v7
	v_mul_u32_u24_e32 v41, 9, v41
	v_mul_f32_e32 v52, v38, v5
	v_add_lshl_u32 v125, v42, v46, 3
	v_mul_f32_e32 v42, v14, v1
	v_mul_u32_u24_e32 v43, 9, v43
	v_mul_f32_e32 v46, v32, v31
	v_add_lshl_u32 v126, v41, v45, 3
	v_mul_f32_e32 v45, v33, v31
	v_mul_f32_e32 v55, v15, v1
	v_add_lshl_u32 v124, v43, v47, 3
	v_dual_fmac_f32 v46, v33, v30 :: v_dual_mul_f32 v43, v23, v29
	v_mul_f32_e32 v47, v37, v17
	v_mul_f32_e32 v56, v9, v3
	;; [unrolled: 1-line block ×3, first 2 shown]
	v_fma_f32 v23, v32, v30, -v45
	v_fma_f32 v22, v22, v28, -v43
	;; [unrolled: 1-line block ×3, first 2 shown]
	v_fmac_f32_e32 v48, v37, v16
	v_fma_f32 v33, v34, v18, -v49
	v_fmac_f32_e32 v50, v35, v18
	v_fma_f32 v34, v38, v4, -v51
	v_dual_fmac_f32 v52, v39, v4 :: v_dual_fmac_f32 v41, v9, v2
	v_fma_f32 v35, v10, v6, -v53
	v_fmac_f32_e32 v54, v11, v6
	v_fma_f32 v10, v14, v0, -v55
	v_dual_fmac_f32 v42, v15, v0 :: v_dual_add_f32 v37, v44, v46
	v_fma_f32 v8, v8, v2, -v56
	v_add_f32_e32 v9, v24, v22
	v_dual_add_f32 v11, v22, v23 :: v_dual_sub_f32 v36, v44, v46
	v_add_f32_e32 v39, v26, v32
	v_dual_add_f32 v15, v25, v44 :: v_dual_sub_f32 v38, v22, v23
	v_add_f32_e32 v43, v32, v33
	v_dual_sub_f32 v44, v48, v50 :: v_dual_add_f32 v45, v27, v48
	v_add_f32_e32 v47, v48, v50
	v_dual_sub_f32 v48, v32, v33 :: v_dual_add_f32 v49, v34, v35
	v_dual_add_f32 v32, v20, v34 :: v_dual_add_f32 v53, v21, v52
	v_dual_sub_f32 v51, v52, v54 :: v_dual_sub_f32 v58, v42, v41
	v_dual_add_f32 v52, v52, v54 :: v_dual_sub_f32 v55, v34, v35
	v_add_f32_e32 v34, v10, v8
	v_dual_add_f32 v57, v42, v41 :: v_dual_add_f32 v14, v9, v23
	v_sub_f32_e32 v59, v10, v8
	v_fma_f32 v22, -0.5, v11, v24
	v_add_f32_e32 v24, v39, v33
	v_fma_f32 v23, -0.5, v37, v25
	v_fma_f32 v20, -0.5, v49, v20
	v_fmac_f32_e32 v21, -0.5, v52
	v_fma_f32 v56, -0.5, v34, v12
	v_fma_f32 v57, -0.5, v57, v13
	;; [unrolled: 1-line block ×3, first 2 shown]
	v_fmac_f32_e32 v27, -0.5, v47
	v_dual_add_f32 v15, v15, v46 :: v_dual_add_f32 v32, v32, v35
	v_dual_add_f32 v25, v45, v50 :: v_dual_fmamk_f32 v34, v36, 0x3f5db3d7, v22
	v_fmamk_f32 v35, v38, 0xbf5db3d7, v23
	v_dual_fmac_f32 v23, 0x3f5db3d7, v38 :: v_dual_fmamk_f32 v62, v58, 0x3f5db3d7, v56
	v_fmamk_f32 v38, v51, 0x3f5db3d7, v20
	v_dual_fmamk_f32 v39, v55, 0xbf5db3d7, v21 :: v_dual_fmac_f32 v56, 0xbf5db3d7, v58
	v_fmamk_f32 v63, v59, 0xbf5db3d7, v57
	v_fmac_f32_e32 v57, 0x3f5db3d7, v59
	v_dual_fmac_f32 v22, 0xbf5db3d7, v36 :: v_dual_add_f32 v33, v53, v54
	v_fmamk_f32 v36, v44, 0x3f5db3d7, v26
	v_dual_fmamk_f32 v37, v48, 0xbf5db3d7, v27 :: v_dual_fmac_f32 v20, 0xbf5db3d7, v51
	v_fmac_f32_e32 v26, 0xbf5db3d7, v44
	v_fmac_f32_e32 v27, 0x3f5db3d7, v48
	;; [unrolled: 1-line block ×3, first 2 shown]
	ds_store_2addr_b64 v126, v[14:15], v[34:35] offset1:3
	ds_store_b64 v126, v[22:23] offset:48
	ds_store_2addr_b64 v125, v[24:25], v[36:37] offset1:3
	ds_store_b64 v125, v[26:27] offset:48
	;; [unrolled: 2-line block ×3, first 2 shown]
	s_and_saveexec_b32 s0, vcc_lo
	s_cbranch_execz .LBB0_11
; %bb.10:
	v_add_f32_e32 v10, v12, v10
	v_add_f32_e32 v9, v13, v42
	v_mul_u32_u24_e32 v11, 9, v123
	s_delay_alu instid0(VALU_DEP_2) | instskip(NEXT) | instid1(VALU_DEP_2)
	v_dual_add_f32 v8, v10, v8 :: v_dual_add_f32 v9, v9, v41
	v_add_lshl_u32 v10, v11, v117, 3
	ds_store_2addr_b64 v10, v[8:9], v[62:63] offset1:3
	ds_store_b64 v10, v[56:57] offset:48
.LBB0_11:
	s_wait_alu 0xfffe
	s_or_b32 exec_lo, exec_lo, s0
	v_mul_lo_u16 v8, v40, 57
	global_wb scope:SCOPE_SE
	s_wait_dscnt 0x0
	s_barrier_signal -1
	s_barrier_wait -1
	global_inv scope:SCOPE_SE
	v_lshrrev_b16 v14, 9, v8
	v_mul_lo_u16 v8, v106, 57
	v_cmp_gt_u16_e64 s0, 27, v116
	s_delay_alu instid0(VALU_DEP_3) | instskip(NEXT) | instid1(VALU_DEP_3)
	v_mul_lo_u16 v9, v14, 9
	v_lshrrev_b16 v15, 9, v8
	s_delay_alu instid0(VALU_DEP_2) | instskip(NEXT) | instid1(VALU_DEP_2)
	v_sub_nc_u16 v8, v116, v9
	v_mul_lo_u16 v9, v15, 9
	s_delay_alu instid0(VALU_DEP_2) | instskip(NEXT) | instid1(VALU_DEP_2)
	v_and_b32_e32 v52, 0xff, v8
	v_sub_nc_u16 v8, v105, v9
	s_delay_alu instid0(VALU_DEP_2) | instskip(SKIP_2) | instid1(VALU_DEP_1)
	v_lshlrev_b32_e32 v9, 5, v52
	global_load_b128 v[40:43], v9, s[2:3] offset:48
	v_and_b32_e32 v53, 0xff, v8
	v_lshlrev_b32_e32 v8, 5, v53
	s_clause 0x2
	global_load_b128 v[36:39], v9, s[2:3] offset:64
	global_load_b128 v[32:35], v8, s[2:3] offset:48
	;; [unrolled: 1-line block ×3, first 2 shown]
	ds_load_2addr_b64 v[10:13], v115 offset0:126 offset1:189
	v_add_nc_u32_e32 v9, 0x400, v115
	v_add_nc_u32_e32 v8, 0xc00, v115
	;; [unrolled: 1-line block ×3, first 2 shown]
	ds_load_2addr_b64 v[20:23], v9 offset0:124 offset1:187
	ds_load_2addr_b64 v[44:47], v54 offset0:122 offset1:185
	v_and_b32_e32 v15, 0xffff, v15
	ds_load_2addr_b64 v[64:67], v115 offset1:63
	s_wait_loadcnt_dscnt 0x201
	v_mul_f32_e32 v55, v45, v37
	s_wait_loadcnt 0x1
	v_mul_f32_e32 v60, v13, v33
	v_mul_f32_e32 v61, v12, v33
	ds_load_2addr_b64 v[48:51], v8 offset0:120 offset1:183
	v_and_b32_e32 v14, 0xffff, v14
	v_mul_u32_u24_e32 v15, 45, v15
	v_dual_mul_f32 v58, v44, v37 :: v_dual_mul_f32 v69, v23, v35
	s_wait_loadcnt 0x0
	v_mul_f32_e32 v72, v46, v25
	v_fma_f32 v12, v12, v32, -v60
	v_add_lshl_u32 v127, v15, v53, 3
	v_mul_f32_e32 v15, v10, v41
	v_mul_f32_e32 v53, v20, v43
	;; [unrolled: 1-line block ×3, first 2 shown]
	global_wb scope:SCOPE_SE
	s_wait_dscnt 0x0
	s_barrier_signal -1
	v_fmac_f32_e32 v15, v11, v40
	v_dual_fmac_f32 v61, v13, v32 :: v_dual_fmac_f32 v70, v23, v34
	s_barrier_wait -1
	v_mul_f32_e32 v71, v47, v25
	v_fmac_f32_e32 v53, v21, v42
	v_fmac_f32_e32 v58, v45, v36
	v_mul_f32_e32 v59, v49, v39
	v_mul_u32_u24_e32 v14, 45, v14
	v_mul_f32_e32 v68, v48, v39
	v_mul_f32_e32 v73, v51, v27
	;; [unrolled: 1-line block ×3, first 2 shown]
	global_inv scope:SCOPE_SE
	v_add_lshl_u32 v128, v14, v52, 3
	v_mul_f32_e32 v14, v11, v41
	v_mul_f32_e32 v52, v21, v43
	v_sub_f32_e32 v60, v15, v53
	v_add_f32_e32 v76, v66, v12
	v_add_f32_e32 v108, v67, v61
	v_fma_f32 v10, v10, v40, -v14
	v_fma_f32 v11, v20, v42, -v52
	;; [unrolled: 1-line block ×4, first 2 shown]
	v_fmac_f32_e32 v68, v49, v38
	v_fma_f32 v20, v22, v34, -v69
	v_sub_f32_e32 v23, v10, v11
	v_fma_f32 v22, v46, v24, -v71
	v_dual_fmac_f32 v72, v47, v24 :: v_dual_add_f32 v13, v64, v10
	v_fma_f32 v46, v50, v26, -v73
	v_dual_add_f32 v21, v11, v14 :: v_dual_add_f32 v52, v65, v15
	v_dual_fmac_f32 v74, v51, v26 :: v_dual_add_f32 v49, v10, v44
	v_add_f32_e32 v55, v53, v58
	s_delay_alu instid0(VALU_DEP_4)
	v_dual_add_f32 v73, v15, v68 :: v_dual_sub_f32 v110, v12, v46
	v_dual_sub_f32 v45, v15, v68 :: v_dual_sub_f32 v48, v44, v14
	v_sub_f32_e32 v47, v53, v58
	v_dual_sub_f32 v50, v11, v10 :: v_dual_sub_f32 v51, v14, v44
	v_dual_sub_f32 v59, v10, v44 :: v_dual_sub_f32 v78, v61, v74
	v_sub_f32_e32 v71, v68, v58
	v_dual_add_f32 v77, v20, v22 :: v_dual_sub_f32 v118, v70, v61
	v_dual_sub_f32 v81, v46, v22 :: v_dual_add_f32 v130, v13, v11
	v_fma_f32 v10, -0.5, v21, v64
	v_dual_sub_f32 v69, v11, v14 :: v_dual_sub_f32 v80, v12, v20
	v_add_f32_e32 v109, v70, v72
	v_dual_sub_f32 v79, v70, v72 :: v_dual_add_f32 v114, v61, v74
	v_dual_add_f32 v103, v12, v46 :: v_dual_add_f32 v48, v23, v48
	v_dual_sub_f32 v15, v53, v15 :: v_dual_sub_f32 v104, v20, v12
	v_dual_sub_f32 v75, v58, v68 :: v_dual_sub_f32 v112, v61, v70
	v_fma_f32 v12, -0.5, v49, v64
	v_fma_f32 v11, -0.5, v55, v65
	v_add_f32_e32 v21, v52, v53
	v_fma_f32 v13, -0.5, v73, v65
	v_sub_f32_e32 v107, v22, v46
	v_sub_f32_e32 v111, v20, v22
	;; [unrolled: 1-line block ×3, first 2 shown]
	v_dual_add_f32 v73, v130, v14 :: v_dual_fmamk_f32 v14, v45, 0x3f737871, v10
	v_dual_fmac_f32 v10, 0xbf737871, v45 :: v_dual_add_f32 v49, v50, v51
	v_add_f32_e32 v50, v60, v71
	v_fma_f32 v60, -0.5, v77, v66
	v_add_f32_e32 v23, v76, v20
	v_add_f32_e32 v52, v80, v81
	v_fma_f32 v61, -0.5, v109, v67
	v_fma_f32 v66, -0.5, v103, v66
	v_fmac_f32_e32 v67, -0.5, v114
	v_dual_sub_f32 v129, v72, v74 :: v_dual_fmamk_f32 v20, v47, 0xbf737871, v12
	s_delay_alu instid0(VALU_DEP_3)
	v_dual_add_f32 v55, v108, v70 :: v_dual_fmamk_f32 v64, v79, 0xbf737871, v66
	v_fmac_f32_e32 v12, 0x3f737871, v47
	v_dual_add_f32 v51, v15, v75 :: v_dual_add_f32 v58, v21, v58
	v_fmamk_f32 v15, v59, 0xbf737871, v11
	v_fmamk_f32 v21, v69, 0x3f737871, v13
	v_fmac_f32_e32 v13, 0xbf737871, v69
	v_dual_add_f32 v75, v23, v22 :: v_dual_fmac_f32 v10, 0xbf167918, v47
	v_fmac_f32_e32 v11, 0x3f737871, v59
	v_dual_add_f32 v53, v104, v107 :: v_dual_fmamk_f32 v22, v78, 0x3f737871, v60
	v_dual_fmac_f32 v60, 0xbf737871, v78 :: v_dual_fmamk_f32 v23, v110, 0xbf737871, v61
	v_dual_fmac_f32 v66, 0x3f737871, v79 :: v_dual_fmamk_f32 v65, v111, 0x3f737871, v67
	v_fmac_f32_e32 v67, 0xbf737871, v111
	v_dual_add_f32 v55, v55, v72 :: v_dual_fmac_f32 v20, 0x3f167918, v45
	v_fmac_f32_e32 v61, 0x3f737871, v110
	v_fmac_f32_e32 v14, 0x3f167918, v47
	v_dual_fmac_f32 v15, 0xbf167918, v69 :: v_dual_fmac_f32 v60, 0xbf167918, v79
	v_dual_fmac_f32 v12, 0xbf167918, v45 :: v_dual_add_f32 v45, v58, v68
	v_dual_fmac_f32 v21, 0xbf167918, v59 :: v_dual_fmac_f32 v66, 0xbf167918, v78
	v_dual_fmac_f32 v13, 0x3f167918, v59 :: v_dual_fmac_f32 v64, 0x3f167918, v78
	v_dual_add_f32 v46, v75, v46 :: v_dual_fmac_f32 v11, 0x3f167918, v69
	v_fmac_f32_e32 v22, 0x3f167918, v79
	v_dual_add_f32 v70, v112, v113 :: v_dual_fmac_f32 v23, 0xbf167918, v111
	v_dual_add_f32 v71, v118, v129 :: v_dual_add_f32 v44, v73, v44
	v_fmac_f32_e32 v65, 0xbf167918, v110
	v_fmac_f32_e32 v67, 0x3f167918, v110
	v_dual_add_f32 v47, v55, v74 :: v_dual_fmac_f32 v14, 0x3e9e377a, v48
	v_fmac_f32_e32 v61, 0x3f167918, v111
	v_dual_fmac_f32 v10, 0x3e9e377a, v48 :: v_dual_fmac_f32 v15, 0x3e9e377a, v50
	v_dual_fmac_f32 v20, 0x3e9e377a, v49 :: v_dual_fmac_f32 v11, 0x3e9e377a, v50
	;; [unrolled: 1-line block ×7, first 2 shown]
	v_fmac_f32_e32 v67, 0x3e9e377a, v71
	ds_store_2addr_b64 v128, v[44:45], v[14:15] offset1:9
	ds_store_2addr_b64 v128, v[20:21], v[12:13] offset0:18 offset1:27
	ds_store_b64 v128, v[10:11] offset:288
	ds_store_2addr_b64 v127, v[46:47], v[22:23] offset1:9
	ds_store_2addr_b64 v127, v[64:65], v[66:67] offset0:18 offset1:27
	ds_store_b64 v127, v[60:61] offset:288
	global_wb scope:SCOPE_SE
	s_wait_dscnt 0x0
	s_barrier_signal -1
	s_barrier_wait -1
	global_inv scope:SCOPE_SE
	ds_load_2addr_b64 v[68:71], v115 offset1:90
	ds_load_2addr_b64 v[76:79], v9 offset0:52 offset1:142
	ds_load_2addr_b64 v[72:75], v54 offset0:104 offset1:194
	ds_load_b64 v[103:104], v115 offset:4320
                                        ; implicit-def: $vgpr80
	s_and_saveexec_b32 s1, s0
	s_cbranch_execz .LBB0_13
; %bb.12:
	ds_load_2addr_b64 v[64:67], v115 offset0:63 offset1:153
	ds_load_2addr_b64 v[60:63], v9 offset0:115 offset1:205
	;; [unrolled: 1-line block ×3, first 2 shown]
	ds_load_b64 v[80:81], v115 offset:4824
.LBB0_13:
	s_wait_alu 0xfffe
	s_or_b32 exec_lo, exec_lo, s1
	v_subrev_nc_u32_e32 v8, 45, v116
	v_cmp_gt_u16_e64 s1, 45, v116
	s_wait_alu 0xf1ff
	s_delay_alu instid0(VALU_DEP_1) | instskip(NEXT) | instid1(VALU_DEP_1)
	v_cndmask_b32_e64 v107, v8, v116, s1
	v_mul_i32_i24_e32 v8, 48, v107
	v_mul_hi_i32_i24_e32 v9, 48, v107
	s_delay_alu instid0(VALU_DEP_2) | instskip(SKIP_1) | instid1(VALU_DEP_2)
	v_add_co_u32 v8, s1, s2, v8
	s_wait_alu 0xf1ff
	v_add_co_ci_u32_e64 v9, s1, s3, v9, s1
	v_cmp_lt_u16_e64 s1, 44, v116
	s_clause 0x2
	global_load_b128 v[52:55], v[8:9], off offset:336
	global_load_b128 v[48:51], v[8:9], off offset:352
	;; [unrolled: 1-line block ×3, first 2 shown]
	v_mul_lo_u16 v8, 0x6d, v106
	s_delay_alu instid0(VALU_DEP_1) | instskip(NEXT) | instid1(VALU_DEP_1)
	v_lshrrev_b16 v8, 8, v8
	v_sub_nc_u16 v9, v105, v8
	s_delay_alu instid0(VALU_DEP_1) | instskip(SKIP_1) | instid1(VALU_DEP_1)
	v_lshrrev_b16 v9, 1, v9
	s_wait_loadcnt_dscnt 0x202
	v_dual_mul_f32 v108, v76, v55 :: v_dual_and_b32 v9, 0x7f, v9
	s_delay_alu instid0(VALU_DEP_1)
	v_add_nc_u16 v8, v9, v8
	v_mul_f32_e32 v106, v70, v53
	s_wait_loadcnt_dscnt 0x101
	v_dual_mul_f32 v109, v79, v49 :: v_dual_mul_f32 v112, v72, v51
	v_dual_mul_f32 v110, v78, v49 :: v_dual_mul_f32 v111, v73, v51
	v_lshrrev_b16 v8, 5, v8
	s_wait_loadcnt_dscnt 0x0
	v_dual_mul_f32 v113, v75, v45 :: v_dual_mul_f32 v130, v104, v47
	v_dual_mul_f32 v114, v74, v45 :: v_dual_mul_f32 v131, v103, v47
	s_delay_alu instid0(VALU_DEP_3) | instskip(SKIP_1) | instid1(VALU_DEP_3)
	v_mul_lo_u16 v8, v8, 45
	v_fma_f32 v72, v72, v50, -v111
	v_fmac_f32_e32 v131, v104, v46
	s_delay_alu instid0(VALU_DEP_3) | instskip(SKIP_2) | instid1(VALU_DEP_2)
	v_sub_nc_u16 v8, v105, v8
	s_wait_alu 0xf1ff
	v_cndmask_b32_e64 v105, 0, 0x13b, s1
	v_and_b32_e32 v118, 0xff, v8
	s_delay_alu instid0(VALU_DEP_2) | instskip(SKIP_2) | instid1(VALU_DEP_4)
	v_add_lshl_u32 v129, v107, v105, 3
	v_mul_f32_e32 v105, v71, v53
	v_dual_mul_f32 v107, v77, v55 :: v_dual_fmac_f32 v106, v71, v52
	v_mad_co_u64_u32 v[20:21], null, v118, 48, s[2:3]
	s_delay_alu instid0(VALU_DEP_3) | instskip(NEXT) | instid1(VALU_DEP_3)
	v_fma_f32 v70, v70, v52, -v105
	v_fma_f32 v71, v76, v54, -v107
	v_fmac_f32_e32 v108, v77, v54
	s_clause 0x2
	global_load_b128 v[12:15], v[20:21], off offset:336
	global_load_b128 v[8:11], v[20:21], off offset:352
	;; [unrolled: 1-line block ×3, first 2 shown]
	v_fma_f32 v76, v78, v48, -v109
	v_fma_f32 v77, v103, v46, -v130
	v_fmac_f32_e32 v112, v73, v50
	v_fma_f32 v73, v74, v44, -v113
	v_fmac_f32_e32 v110, v79, v48
	s_delay_alu instid0(VALU_DEP_4)
	v_dual_add_f32 v103, v76, v72 :: v_dual_add_f32 v74, v70, v77
	global_wb scope:SCOPE_SE
	s_wait_loadcnt 0x0
	v_add_f32_e32 v78, v71, v73
	v_dual_fmac_f32 v114, v75, v44 :: v_dual_add_f32 v75, v106, v131
	v_sub_f32_e32 v71, v71, v73
	s_barrier_signal -1
	s_delay_alu instid0(VALU_DEP_3) | instskip(NEXT) | instid1(VALU_DEP_3)
	v_add_f32_e32 v105, v78, v74
	v_dual_sub_f32 v70, v70, v77 :: v_dual_sub_f32 v73, v108, v114
	v_sub_f32_e32 v77, v106, v131
	v_add_f32_e32 v79, v108, v114
	v_dual_sub_f32 v72, v72, v76 :: v_dual_sub_f32 v107, v78, v74
	v_add_f32_e32 v104, v110, v112
	v_sub_f32_e32 v74, v74, v103
	s_delay_alu instid0(VALU_DEP_3)
	v_dual_add_f32 v106, v79, v75 :: v_dual_sub_f32 v113, v70, v72
	v_sub_f32_e32 v108, v79, v75
	v_add_f32_e32 v109, v72, v71
	v_dual_sub_f32 v76, v112, v110 :: v_dual_sub_f32 v75, v75, v104
	v_dual_sub_f32 v78, v103, v78 :: v_dual_sub_f32 v79, v104, v79
	v_sub_f32_e32 v111, v72, v71
	s_delay_alu instid0(VALU_DEP_3)
	v_dual_add_f32 v110, v76, v73 :: v_dual_mul_f32 v75, 0x3f4a47b2, v75
	v_sub_f32_e32 v112, v76, v73
	v_dual_add_f32 v103, v103, v105 :: v_dual_add_f32 v104, v104, v106
	v_dual_sub_f32 v76, v77, v76 :: v_dual_sub_f32 v71, v71, v70
	v_sub_f32_e32 v114, v73, v77
	v_dual_add_f32 v70, v109, v70 :: v_dual_add_f32 v77, v110, v77
	s_delay_alu instid0(VALU_DEP_4)
	v_dual_mul_f32 v74, 0x3f4a47b2, v74 :: v_dual_add_f32 v73, v69, v104
	v_dual_mul_f32 v105, 0x3d64c772, v78 :: v_dual_mul_f32 v106, 0x3d64c772, v79
	v_fmamk_f32 v69, v79, 0x3d64c772, v75
	v_dual_mul_f32 v109, 0xbf08b237, v111 :: v_dual_mul_f32 v110, 0xbf08b237, v112
	v_add_f32_e32 v72, v68, v103
	v_fmamk_f32 v68, v78, 0x3d64c772, v74
	v_fma_f32 v78, 0x3f3bfb3b, v107, -v105
	v_fma_f32 v79, 0x3f3bfb3b, v108, -v106
	;; [unrolled: 1-line block ×4, first 2 shown]
	v_mul_f32_e32 v112, 0x3f5ff5aa, v114
	v_dual_fmamk_f32 v108, v113, 0x3eae86e6, v109 :: v_dual_fmamk_f32 v107, v76, 0x3eae86e6, v110
	v_mul_f32_e32 v111, 0x3f5ff5aa, v71
	v_fma_f32 v71, 0x3f5ff5aa, v71, -v109
	s_delay_alu instid0(VALU_DEP_4)
	v_fma_f32 v109, 0xbeae86e6, v76, -v112
	s_barrier_wait -1
	v_fmac_f32_e32 v107, 0x3ee1c552, v77
	v_dual_fmamk_f32 v76, v103, 0xbf955555, v72 :: v_dual_fmamk_f32 v103, v104, 0xbf955555, v73
	v_fma_f32 v106, 0xbeae86e6, v113, -v111
	v_fmac_f32_e32 v109, 0x3ee1c552, v77
	global_inv scope:SCOPE_SE
	v_add_f32_e32 v69, v69, v103
	v_fma_f32 v105, 0x3f5ff5aa, v114, -v110
	v_fmac_f32_e32 v108, 0x3ee1c552, v70
	v_fmac_f32_e32 v106, 0x3ee1c552, v70
	v_add_f32_e32 v104, v79, v103
	s_delay_alu instid0(VALU_DEP_4) | instskip(SKIP_2) | instid1(VALU_DEP_2)
	v_dual_add_f32 v110, v74, v76 :: v_dual_fmac_f32 v105, 0x3ee1c552, v77
	v_add_f32_e32 v111, v75, v103
	v_sub_f32_e32 v75, v69, v108
	v_sub_f32_e32 v77, v111, v106
	v_mul_f32_e32 v113, v66, v13
	v_mul_f32_e32 v131, v63, v9
	;; [unrolled: 1-line block ×3, first 2 shown]
	v_dual_fmac_f32 v71, 0x3ee1c552, v70 :: v_dual_add_f32 v68, v68, v76
	v_dual_add_f32 v70, v78, v76 :: v_dual_mul_f32 v133, v57, v11
	v_mul_f32_e32 v138, v80, v23
	v_mul_f32_e32 v130, v60, v15
	s_delay_alu instid0(VALU_DEP_3)
	v_dual_mul_f32 v134, v56, v11 :: v_dual_add_f32 v103, v105, v70
	v_mul_f32_e32 v136, v58, v21
	v_dual_add_f32 v76, v109, v110 :: v_dual_fmac_f32 v113, v67, v12
	v_sub_f32_e32 v78, v70, v105
	v_dual_sub_f32 v105, v110, v109 :: v_dual_fmac_f32 v138, v81, v22
	v_dual_mul_f32 v132, v62, v9 :: v_dual_add_f32 v79, v71, v104
	v_dual_add_f32 v74, v107, v68 :: v_dual_sub_f32 v107, v68, v107
	s_delay_alu instid0(VALU_DEP_3) | instskip(SKIP_3) | instid1(VALU_DEP_3)
	v_dual_fmac_f32 v136, v59, v20 :: v_dual_add_f32 v59, v113, v138
	v_fmac_f32_e32 v130, v61, v14
	v_dual_mul_f32 v112, v67, v13 :: v_dual_mul_f32 v137, v81, v23
	v_mul_f32_e32 v114, v61, v15
	v_dual_sub_f32 v104, v104, v71 :: v_dual_add_f32 v67, v130, v136
	v_fmac_f32_e32 v132, v63, v8
	v_fmac_f32_e32 v134, v57, v10
	v_add_f32_e32 v108, v108, v69
	v_fma_f32 v66, v66, v12, -v112
	v_fma_f32 v60, v60, v14, -v114
	;; [unrolled: 1-line block ×6, first 2 shown]
	v_add_f32_e32 v69, v132, v134
	v_add_f32_e32 v71, v67, v59
	v_add_f32_e32 v106, v106, v111
	v_sub_f32_e32 v81, v67, v59
	v_sub_f32_e32 v63, v113, v138
	v_add_f32_e32 v68, v61, v56
	v_sub_f32_e32 v56, v56, v61
	v_sub_f32_e32 v59, v59, v69
	;; [unrolled: 1-line block ×3, first 2 shown]
	v_dual_add_f32 v69, v69, v71 :: v_dual_add_f32 v58, v66, v62
	v_sub_f32_e32 v62, v66, v62
	v_add_f32_e32 v66, v60, v57
	v_sub_f32_e32 v57, v60, v57
	v_sub_f32_e32 v61, v134, v132
	v_dual_sub_f32 v60, v130, v136 :: v_dual_mul_f32 v59, 0x3f4a47b2, v59
	v_mul_f32_e32 v71, 0x3d64c772, v67
	s_delay_alu instid0(VALU_DEP_4) | instskip(NEXT) | instid1(VALU_DEP_3)
	v_add_f32_e32 v109, v56, v57
	v_dual_sub_f32 v113, v63, v61 :: v_dual_add_f32 v110, v61, v60
	s_delay_alu instid0(VALU_DEP_4)
	v_fmamk_f32 v131, v67, 0x3d64c772, v59
	v_sub_f32_e32 v111, v56, v57
	v_sub_f32_e32 v57, v57, v62
	v_add_f32_e32 v70, v66, v58
	v_sub_f32_e32 v80, v66, v58
	v_sub_f32_e32 v56, v62, v56
	;; [unrolled: 1-line block ×3, first 2 shown]
	v_dual_add_f32 v62, v109, v62 :: v_dual_add_f32 v63, v110, v63
	v_dual_sub_f32 v58, v58, v68 :: v_dual_mul_f32 v109, 0xbf08b237, v111
	v_sub_f32_e32 v112, v61, v60
	v_dual_add_f32 v61, v65, v69 :: v_dual_sub_f32 v66, v68, v66
	v_mul_f32_e32 v111, 0x3f5ff5aa, v57
	v_fma_f32 v71, 0x3f3bfb3b, v81, -v71
	v_fma_f32 v59, 0xbf3bfb3b, v81, -v59
	s_delay_alu instid0(VALU_DEP_4)
	v_fmamk_f32 v81, v69, 0xbf955555, v61
	v_mul_f32_e32 v58, 0x3f4a47b2, v58
	v_fmamk_f32 v65, v56, 0x3eae86e6, v109
	v_fma_f32 v67, 0xbeae86e6, v56, -v111
	v_fma_f32 v57, 0x3f5ff5aa, v57, -v109
	ds_store_2addr_b64 v129, v[72:73], v[74:75] offset1:45
	ds_store_2addr_b64 v129, v[76:77], v[78:79] offset0:90 offset1:135
	ds_store_2addr_b64 v129, v[103:104], v[105:106] offset0:180 offset1:225
	ds_store_b64 v129, v[107:108] offset:2160
	v_fmamk_f32 v130, v66, 0x3d64c772, v58
	v_add_f32_e32 v68, v68, v70
	v_mul_f32_e32 v70, 0x3d64c772, v66
	v_fma_f32 v58, 0xbf3bfb3b, v80, -v58
	s_delay_alu instid0(VALU_DEP_3) | instskip(NEXT) | instid1(VALU_DEP_3)
	v_add_f32_e32 v60, v64, v68
	v_fma_f32 v70, 0x3f3bfb3b, v80, -v70
	s_delay_alu instid0(VALU_DEP_2) | instskip(NEXT) | instid1(VALU_DEP_1)
	v_fmamk_f32 v56, v68, 0xbf955555, v60
	v_add_f32_e32 v109, v70, v56
	v_fmac_f32_e32 v67, 0x3ee1c552, v62
	v_mul_f32_e32 v110, 0xbf08b237, v112
	v_mul_f32_e32 v112, 0x3f5ff5aa, v114
	v_fmac_f32_e32 v57, 0x3ee1c552, v62
	v_dual_fmac_f32 v65, 0x3ee1c552, v62 :: v_dual_add_f32 v70, v131, v81
	s_delay_alu instid0(VALU_DEP_4) | instskip(SKIP_3) | instid1(VALU_DEP_4)
	v_fmamk_f32 v66, v113, 0x3eae86e6, v110
	v_fma_f32 v80, 0x3f5ff5aa, v114, -v110
	v_fma_f32 v64, 0xbeae86e6, v113, -v112
	v_add_f32_e32 v110, v71, v81
	v_dual_add_f32 v71, v59, v81 :: v_dual_fmac_f32 v66, 0x3ee1c552, v63
	s_delay_alu instid0(VALU_DEP_4) | instskip(NEXT) | instid1(VALU_DEP_3)
	v_fmac_f32_e32 v80, 0x3ee1c552, v63
	v_dual_fmac_f32 v64, 0x3ee1c552, v63 :: v_dual_add_f32 v63, v57, v110
	v_add_f32_e32 v69, v130, v56
	s_delay_alu instid0(VALU_DEP_3) | instskip(SKIP_1) | instid1(VALU_DEP_3)
	v_dual_sub_f32 v57, v110, v57 :: v_dual_sub_f32 v62, v109, v80
	v_dual_add_f32 v59, v67, v71 :: v_dual_add_f32 v114, v65, v70
	v_dual_sub_f32 v113, v69, v66 :: v_dual_add_f32 v68, v58, v56
	v_add_f32_e32 v56, v80, v109
	s_delay_alu instid0(VALU_DEP_2)
	v_sub_f32_e32 v58, v68, v64
	s_and_saveexec_b32 s1, s0
	s_cbranch_execz .LBB0_15
; %bb.14:
	v_dual_sub_f32 v67, v71, v67 :: v_dual_lshlrev_b32 v72, 3, v118
	v_sub_f32_e32 v70, v70, v65
	v_dual_add_f32 v69, v66, v69 :: v_dual_add_f32 v66, v64, v68
	s_delay_alu instid0(VALU_DEP_3)
	v_add_nc_u32_e32 v65, 0x800, v72
	v_add_nc_u32_e32 v64, 0xc00, v72
	ds_store_2addr_b64 v65, v[60:61], v[69:70] offset0:59 offset1:104
	ds_store_2addr_b64 v65, v[66:67], v[62:63] offset0:149 offset1:194
	;; [unrolled: 1-line block ×3, first 2 shown]
	ds_store_b64 v72, v[113:114] offset:4680
.LBB0_15:
	s_wait_alu 0xfffe
	s_or_b32 exec_lo, exec_lo, s1
	global_wb scope:SCOPE_SE
	s_wait_dscnt 0x0
	s_barrier_signal -1
	s_barrier_wait -1
	global_inv scope:SCOPE_SE
	s_clause 0x4
	global_load_b64 v[103:104], v115, s[2:3] offset:2496
	global_load_b64 v[105:106], v115, s[2:3] offset:3000
	;; [unrolled: 1-line block ×5, first 2 shown]
	v_add_nc_u32_e32 v81, 0x400, v115
	v_add_nc_u32_e32 v148, 0xc00, v115
	s_add_nc_u64 s[2:3], s[16:17], 0x13b0
	ds_load_2addr_b64 v[65:68], v81 offset0:124 offset1:187
	s_wait_loadcnt_dscnt 0x400
	v_dual_mul_f32 v61, v67, v104 :: v_dual_add_nc_u32 v64, 0x800, v115
	ds_load_2addr_b64 v[69:72], v64 offset0:122 offset1:185
	ds_load_2addr_b64 v[73:76], v148 offset0:120 offset1:183
	ds_load_2addr_b64 v[77:80], v115 offset1:63
	ds_load_2addr_b64 v[130:133], v115 offset0:126 offset1:189
	v_mul_f32_e32 v60, v68, v104
	s_delay_alu instid0(VALU_DEP_1)
	v_fma_f32 v60, v67, v103, -v60
	s_wait_loadcnt_dscnt 0x203
	v_dual_mul_f32 v134, v70, v106 :: v_dual_mul_f32 v137, v71, v108
	v_dual_mul_f32 v135, v69, v106 :: v_dual_mul_f32 v136, v72, v108
	s_wait_loadcnt_dscnt 0x102
	v_mul_f32_e32 v139, v73, v110
	s_wait_loadcnt 0x0
	v_dual_mul_f32 v138, v74, v110 :: v_dual_mul_f32 v141, v75, v112
	v_dual_mul_f32 v140, v76, v112 :: v_dual_fmac_f32 v135, v70, v105
	v_fma_f32 v69, v69, v105, -v134
	v_fmac_f32_e32 v137, v72, v107
	v_fmac_f32_e32 v61, v68, v103
	v_fma_f32 v71, v71, v107, -v136
	v_fma_f32 v73, v73, v109, -v138
	s_wait_dscnt 0x1
	v_dual_fmac_f32 v139, v74, v109 :: v_dual_sub_f32 v70, v80, v135
	v_fma_f32 v75, v75, v111, -v140
	v_fmac_f32_e32 v141, v76, v111
	v_sub_f32_e32 v67, v77, v60
	s_wait_dscnt 0x0
	v_dual_sub_f32 v69, v79, v69 :: v_dual_sub_f32 v74, v133, v139
	v_sub_f32_e32 v72, v131, v137
	v_sub_f32_e32 v68, v78, v61
	;; [unrolled: 1-line block ×3, first 2 shown]
	v_dual_sub_f32 v73, v132, v73 :: v_dual_sub_f32 v60, v65, v75
	v_sub_f32_e32 v61, v66, v141
	v_fma_f32 v75, v77, 2.0, -v67
	v_fma_f32 v76, v78, 2.0, -v68
	v_fma_f32 v77, v79, 2.0, -v69
	v_fma_f32 v78, v80, 2.0, -v70
	v_fma_f32 v79, v130, 2.0, -v71
	v_fma_f32 v80, v131, 2.0, -v72
	v_fma_f32 v130, v132, 2.0, -v73
	v_fma_f32 v131, v133, 2.0, -v74
	v_fma_f32 v65, v65, 2.0, -v60
	v_fma_f32 v66, v66, 2.0, -v61
	ds_store_b64 v115, v[67:68] offset:2520
	ds_store_2addr_b64 v115, v[75:76], v[77:78] offset1:63
	ds_store_2addr_b64 v64, v[69:70], v[71:72] offset0:122 offset1:185
	ds_store_2addr_b64 v115, v[79:80], v[130:131] offset0:126 offset1:189
	ds_store_b64 v115, v[65:66] offset:2016
	ds_store_2addr_b64 v148, v[73:74], v[60:61] offset0:120 offset1:183
	global_wb scope:SCOPE_SE
	s_wait_dscnt 0x0
	s_barrier_signal -1
	s_barrier_wait -1
	global_inv scope:SCOPE_SE
	s_clause 0x8
	global_load_b64 v[69:70], v[83:84], off offset:5040
	global_load_b64 v[130:131], v115, s[2:3] offset:504
	global_load_b64 v[132:133], v115, s[2:3] offset:4368
	;; [unrolled: 1-line block ×8, first 2 shown]
	ds_load_2addr_b64 v[65:68], v115 offset1:63
	ds_load_b64 v[146:147], v115 offset:4368
	s_wait_loadcnt_dscnt 0x801
	v_mul_f32_e32 v72, v66, v70
	v_mul_f32_e32 v71, v65, v70
	s_delay_alu instid0(VALU_DEP_2) | instskip(NEXT) | instid1(VALU_DEP_2)
	v_fma_f32 v70, v65, v69, -v72
	v_fmac_f32_e32 v71, v66, v69
	s_wait_loadcnt 0x7
	v_mul_f32_e32 v65, v68, v131
	v_mul_f32_e32 v66, v67, v131
	ds_store_b64 v115, v[70:71]
	ds_load_2addr_b64 v[69:72], v115 offset0:126 offset1:210
	ds_load_2addr_b64 v[73:76], v64 offset0:164 offset1:227
	;; [unrolled: 1-line block ×3, first 2 shown]
	s_wait_loadcnt_dscnt 0x604
	v_mul_f32_e32 v149, v147, v133
	v_mul_f32_e32 v131, v146, v133
	v_fma_f32 v65, v67, v130, -v65
	v_fmac_f32_e32 v66, v68, v130
	s_delay_alu instid0(VALU_DEP_4)
	v_fma_f32 v130, v146, v132, -v149
	s_wait_loadcnt_dscnt 0x502
	v_mul_f32_e32 v68, v71, v135
	v_mul_f32_e32 v67, v72, v135
	s_wait_loadcnt_dscnt 0x300
	v_mul_f32_e32 v146, v78, v139
	v_mul_f32_e32 v135, v77, v139
	v_dual_fmac_f32 v131, v147, v132 :: v_dual_mul_f32 v132, v74, v137
	v_mul_f32_e32 v133, v73, v137
	s_wait_loadcnt 0x2
	v_mul_f32_e32 v147, v76, v141
	v_mul_f32_e32 v137, v75, v141
	s_wait_loadcnt 0x1
	v_mul_f32_e32 v141, v70, v143
	;; [unrolled: 3-line block ×3, first 2 shown]
	v_mul_f32_e32 v143, v79, v145
	v_fma_f32 v67, v71, v134, -v67
	v_fmac_f32_e32 v68, v72, v134
	v_fma_f32 v134, v77, v138, -v146
	v_fmac_f32_e32 v135, v78, v138
	;; [unrolled: 2-line block ×6, first 2 shown]
	ds_store_2addr_b64 v81, v[67:68], v[134:135] offset0:82 offset1:145
	ds_store_2addr_b64 v115, v[65:66], v[138:139] offset0:63 offset1:126
	;; [unrolled: 1-line block ×4, first 2 shown]
	s_and_saveexec_b32 s1, vcc_lo
	s_cbranch_execz .LBB0_17
; %bb.16:
	s_wait_alu 0xfffe
	v_add_co_u32 v65, s2, s2, v115
	s_wait_alu 0xf1ff
	v_add_co_ci_u32_e64 v66, null, s3, 0, s2
	s_clause 0x2
	global_load_b64 v[69:70], v[65:66], off offset:1512
	global_load_b64 v[71:72], v[65:66], off offset:3192
	;; [unrolled: 1-line block ×3, first 2 shown]
	v_add_nc_u32_e32 v79, 0x500, v115
	ds_load_2addr_b64 v[65:68], v79 offset0:29 offset1:239
	ds_load_b64 v[75:76], v115 offset:4872
	s_wait_loadcnt_dscnt 0x201
	v_mul_f32_e32 v78, v65, v70
	s_wait_loadcnt 0x1
	v_dual_mul_f32 v77, v66, v70 :: v_dual_mul_f32 v80, v68, v72
	s_wait_loadcnt_dscnt 0x0
	v_dual_mul_f32 v70, v67, v72 :: v_dual_mul_f32 v81, v76, v74
	v_mul_f32_e32 v72, v75, v74
	s_delay_alu instid0(VALU_DEP_3)
	v_fma_f32 v77, v65, v69, -v77
	v_fmac_f32_e32 v78, v66, v69
	v_fma_f32 v69, v67, v71, -v80
	v_fmac_f32_e32 v70, v68, v71
	;; [unrolled: 2-line block ×3, first 2 shown]
	ds_store_2addr_b64 v79, v[77:78], v[69:70] offset0:29 offset1:239
	ds_store_b64 v115, v[71:72] offset:4872
.LBB0_17:
	s_wait_alu 0xfffe
	s_or_b32 exec_lo, exec_lo, s1
	global_wb scope:SCOPE_SE
	s_wait_dscnt 0x0
	s_barrier_signal -1
	s_barrier_wait -1
	global_inv scope:SCOPE_SE
	ds_load_2addr_b64 v[70:73], v115 offset1:63
	ds_load_2addr_b64 v[66:69], v115 offset0:126 offset1:210
	ds_load_2addr_b64 v[78:81], v64 offset0:164 offset1:227
	;; [unrolled: 1-line block ×3, first 2 shown]
	ds_load_b64 v[64:65], v115 offset:4368
	s_and_saveexec_b32 s1, vcc_lo
	s_cbranch_execz .LBB0_19
; %bb.18:
	v_add_nc_u32_e32 v56, 0x500, v115
	ds_load_2addr_b64 v[60:63], v56 offset0:29 offset1:239
	ds_load_b64 v[56:57], v115 offset:4872
.LBB0_19:
	s_wait_alu 0xfffe
	s_or_b32 exec_lo, exec_lo, s1
	s_wait_dscnt 0x2
	v_dual_add_f32 v130, v68, v78 :: v_dual_add_f32 v131, v70, v68
	v_sub_f32_e32 v132, v69, v79
	v_add_f32_e32 v133, v69, v79
	v_add_f32_e32 v69, v71, v69
	s_delay_alu instid0(VALU_DEP_4) | instskip(SKIP_3) | instid1(VALU_DEP_4)
	v_fma_f32 v70, -0.5, v130, v70
	v_sub_f32_e32 v130, v68, v78
	v_add_f32_e32 v68, v131, v78
	v_fma_f32 v71, -0.5, v133, v71
	v_dual_add_f32 v69, v69, v79 :: v_dual_fmamk_f32 v78, v132, 0xbf5db3d7, v70
	s_wait_dscnt 0x1
	v_add_f32_e32 v131, v74, v80
	s_delay_alu instid0(VALU_DEP_3) | instskip(SKIP_1) | instid1(VALU_DEP_3)
	v_dual_fmac_f32 v70, 0x3f5db3d7, v132 :: v_dual_fmamk_f32 v79, v130, 0x3f5db3d7, v71
	v_dual_add_f32 v132, v72, v74 :: v_dual_add_f32 v133, v75, v81
	v_fma_f32 v72, -0.5, v131, v72
	v_sub_f32_e32 v131, v75, v81
	v_add_f32_e32 v75, v73, v75
	s_delay_alu instid0(VALU_DEP_4) | instskip(SKIP_1) | instid1(VALU_DEP_4)
	v_dual_fmac_f32 v71, 0xbf5db3d7, v130 :: v_dual_add_f32 v130, v132, v80
	v_dual_sub_f32 v80, v74, v80 :: v_dual_fmac_f32 v73, -0.5, v133
	v_fmamk_f32 v74, v131, 0xbf5db3d7, v72
	s_delay_alu instid0(VALU_DEP_4)
	v_dual_fmac_f32 v72, 0x3f5db3d7, v131 :: v_dual_add_f32 v131, v75, v81
	v_add_f32_e32 v132, v66, v76
	s_wait_dscnt 0x0
	v_add_f32_e32 v81, v76, v64
	v_add_f32_e32 v133, v77, v65
	global_wb scope:SCOPE_SE
	s_barrier_signal -1
	s_barrier_wait -1
	v_fma_f32 v66, -0.5, v81, v66
	v_sub_f32_e32 v81, v77, v65
	v_add_f32_e32 v77, v67, v77
	v_fmamk_f32 v75, v80, 0x3f5db3d7, v73
	v_fmac_f32_e32 v73, 0xbf5db3d7, v80
	v_add_f32_e32 v80, v132, v64
	v_sub_f32_e32 v64, v76, v64
	v_fmamk_f32 v76, v81, 0xbf5db3d7, v66
	v_fmac_f32_e32 v66, 0x3f5db3d7, v81
	v_dual_add_f32 v132, v62, v60 :: v_dual_fmac_f32 v67, -0.5, v133
	v_add_f32_e32 v81, v77, v65
	v_add_f32_e32 v65, v62, v56
	v_sub_f32_e32 v133, v62, v56
	s_delay_alu instid0(VALU_DEP_4)
	v_add_f32_e32 v62, v56, v132
	v_fmamk_f32 v77, v64, 0x3f5db3d7, v67
	global_inv scope:SCOPE_SE
	v_fmac_f32_e32 v60, -0.5, v65
	v_sub_f32_e32 v65, v63, v57
	v_dual_fmac_f32 v67, 0xbf5db3d7, v64 :: v_dual_add_f32 v64, v63, v57
	v_add_f32_e32 v63, v63, v61
	s_delay_alu instid0(VALU_DEP_2) | instskip(NEXT) | instid1(VALU_DEP_2)
	v_dual_fmac_f32 v61, -0.5, v64 :: v_dual_fmamk_f32 v64, v65, 0xbf5db3d7, v60
	v_dual_fmac_f32 v60, 0x3f5db3d7, v65 :: v_dual_add_f32 v63, v57, v63
	ds_store_2addr_b64 v122, v[68:69], v[78:79] offset1:1
	ds_store_b64 v122, v[70:71] offset:16
	ds_store_2addr_b64 v121, v[130:131], v[74:75] offset1:1
	ds_store_b64 v121, v[72:73] offset:16
	;; [unrolled: 2-line block ×3, first 2 shown]
	v_fmamk_f32 v65, v133, 0x3f5db3d7, v61
	v_fmac_f32_e32 v61, 0xbf5db3d7, v133
	s_and_saveexec_b32 s1, vcc_lo
	s_cbranch_execz .LBB0_21
; %bb.20:
	v_lshlrev_b32_e32 v56, 3, v120
	ds_store_2addr_b64 v56, v[62:63], v[64:65] offset1:1
	ds_store_b64 v56, v[60:61] offset:16
.LBB0_21:
	s_wait_alu 0xfffe
	s_or_b32 exec_lo, exec_lo, s1
	v_add_nc_u32_e32 v56, 0x800, v115
	global_wb scope:SCOPE_SE
	s_wait_dscnt 0x0
	s_barrier_signal -1
	s_barrier_wait -1
	global_inv scope:SCOPE_SE
	ds_load_2addr_b64 v[70:73], v115 offset1:63
	ds_load_2addr_b64 v[66:69], v115 offset0:126 offset1:210
	ds_load_2addr_b64 v[78:81], v56 offset0:164 offset1:227
	;; [unrolled: 1-line block ×3, first 2 shown]
	ds_load_b64 v[56:57], v115 offset:4368
	s_and_saveexec_b32 s1, vcc_lo
	s_cbranch_execz .LBB0_23
; %bb.22:
	v_add_nc_u32_e32 v60, 0x500, v115
	ds_load_2addr_b64 v[62:65], v60 offset0:29 offset1:239
	ds_load_b64 v[60:61], v115 offset:4872
.LBB0_23:
	s_wait_alu 0xfffe
	s_or_b32 exec_lo, exec_lo, s1
	s_wait_dscnt 0x2
	v_dual_mul_f32 v119, v29, v69 :: v_dual_mul_f32 v120, v31, v79
	v_mul_f32_e32 v29, v29, v68
	v_mul_f32_e32 v31, v31, v78
	global_wb scope:SCOPE_SE
	s_wait_dscnt 0x0
	v_dual_fmac_f32 v119, v28, v68 :: v_dual_fmac_f32 v120, v30, v78
	v_fma_f32 v28, v28, v69, -v29
	v_mul_f32_e32 v68, v5, v77
	v_mul_f32_e32 v29, v17, v75
	;; [unrolled: 1-line block ×3, first 2 shown]
	v_fma_f32 v30, v30, v79, -v31
	s_delay_alu instid0(VALU_DEP_4) | instskip(NEXT) | instid1(VALU_DEP_4)
	v_dual_mul_f32 v31, v19, v81 :: v_dual_fmac_f32 v68, v4, v76
	v_fmac_f32_e32 v29, v16, v74
	s_delay_alu instid0(VALU_DEP_4) | instskip(SKIP_4) | instid1(VALU_DEP_4)
	v_fma_f32 v69, v16, v75, -v17
	v_dual_mul_f32 v16, v5, v76 :: v_dual_mul_f32 v75, v7, v57
	v_mul_f32_e32 v5, v1, v65
	v_mul_f32_e32 v1, v1, v64
	;; [unrolled: 1-line block ×3, first 2 shown]
	v_fma_f32 v76, v4, v77, -v16
	v_fmac_f32_e32 v75, v6, v56
	v_fmac_f32_e32 v5, v0, v64
	v_fma_f32 v1, v0, v65, -v1
	v_mul_f32_e32 v0, v3, v61
	v_dual_add_f32 v4, v119, v120 :: v_dual_sub_f32 v17, v28, v30
	v_mul_f32_e32 v7, v7, v56
	s_barrier_signal -1
	s_delay_alu instid0(VALU_DEP_3)
	v_fmac_f32_e32 v0, v2, v60
	s_barrier_wait -1
	global_inv scope:SCOPE_SE
	v_fma_f32 v56, v6, v57, -v7
	v_fma_f32 v6, -0.5, v4, v70
	v_fmac_f32_e32 v31, v18, v80
	v_mul_f32_e32 v3, v3, v60
	v_add_f32_e32 v7, v70, v119
	s_delay_alu instid0(VALU_DEP_2) | instskip(SKIP_2) | instid1(VALU_DEP_4)
	v_fma_f32 v4, v2, v61, -v3
	v_add_f32_e32 v2, v28, v30
	v_fma_f32 v74, v18, v81, -v19
	v_add_f32_e32 v16, v7, v120
	v_dual_fmamk_f32 v18, v17, 0xbf5db3d7, v6 :: v_dual_add_f32 v3, v71, v28
	v_add_f32_e32 v19, v29, v31
	v_fma_f32 v7, -0.5, v2, v71
	v_sub_f32_e32 v2, v119, v120
	s_delay_alu instid0(VALU_DEP_4)
	v_dual_fmac_f32 v6, 0x3f5db3d7, v17 :: v_dual_add_f32 v17, v3, v30
	v_add_f32_e32 v3, v72, v29
	v_fma_f32 v72, -0.5, v19, v72
	v_sub_f32_e32 v57, v69, v74
	v_fmamk_f32 v19, v2, 0x3f5db3d7, v7
	v_fmac_f32_e32 v7, 0xbf5db3d7, v2
	v_add_f32_e32 v2, v69, v74
	v_add_f32_e32 v28, v3, v31
	v_fmamk_f32 v30, v57, 0xbf5db3d7, v72
	v_add_f32_e32 v3, v73, v69
	v_dual_fmac_f32 v72, 0x3f5db3d7, v57 :: v_dual_add_f32 v57, v68, v75
	v_dual_fmac_f32 v73, -0.5, v2 :: v_dual_sub_f32 v2, v29, v31
	s_delay_alu instid0(VALU_DEP_3) | instskip(SKIP_1) | instid1(VALU_DEP_4)
	v_add_f32_e32 v29, v3, v74
	v_add_f32_e32 v3, v66, v68
	v_fma_f32 v66, -0.5, v57, v66
	v_sub_f32_e32 v57, v76, v56
	v_fmamk_f32 v31, v2, 0x3f5db3d7, v73
	v_dual_fmac_f32 v73, 0xbf5db3d7, v2 :: v_dual_add_f32 v2, v67, v76
	v_add_f32_e32 v60, v3, v75
	s_delay_alu instid0(VALU_DEP_4) | instskip(SKIP_1) | instid1(VALU_DEP_4)
	v_dual_fmamk_f32 v64, v57, 0xbf5db3d7, v66 :: v_dual_add_f32 v3, v76, v56
	v_dual_fmac_f32 v66, 0x3f5db3d7, v57 :: v_dual_add_f32 v57, v5, v0
	v_add_f32_e32 v61, v2, v56
	s_delay_alu instid0(VALU_DEP_3) | instskip(SKIP_1) | instid1(VALU_DEP_4)
	v_dual_add_f32 v2, v1, v4 :: v_dual_fmac_f32 v67, -0.5, v3
	v_sub_f32_e32 v3, v68, v75
	v_fma_f32 v56, -0.5, v57, v62
	v_sub_f32_e32 v68, v1, v4
	s_delay_alu instid0(VALU_DEP_4) | instskip(SKIP_2) | instid1(VALU_DEP_4)
	v_fma_f32 v57, -0.5, v2, v63
	v_sub_f32_e32 v69, v5, v0
	v_fmamk_f32 v65, v3, 0x3f5db3d7, v67
	v_dual_fmac_f32 v67, 0xbf5db3d7, v3 :: v_dual_fmamk_f32 v2, v68, 0xbf5db3d7, v56
	s_delay_alu instid0(VALU_DEP_3)
	v_dual_fmac_f32 v56, 0x3f5db3d7, v68 :: v_dual_fmamk_f32 v3, v69, 0x3f5db3d7, v57
	v_fmac_f32_e32 v57, 0xbf5db3d7, v69
	ds_store_2addr_b64 v126, v[16:17], v[18:19] offset1:3
	ds_store_b64 v126, v[6:7] offset:48
	ds_store_2addr_b64 v125, v[28:29], v[30:31] offset1:3
	ds_store_b64 v125, v[72:73] offset:48
	;; [unrolled: 2-line block ×3, first 2 shown]
	s_and_saveexec_b32 s1, vcc_lo
	s_cbranch_execz .LBB0_25
; %bb.24:
	v_add_f32_e32 v1, v1, v63
	v_add_f32_e32 v5, v5, v62
	v_mul_u32_u24_e32 v6, 9, v123
	s_delay_alu instid0(VALU_DEP_2) | instskip(NEXT) | instid1(VALU_DEP_2)
	v_dual_add_f32 v1, v4, v1 :: v_dual_add_f32 v0, v5, v0
	v_add_lshl_u32 v4, v6, v117, 3
	ds_store_2addr_b64 v4, v[0:1], v[2:3] offset1:3
	ds_store_b64 v4, v[56:57] offset:48
.LBB0_25:
	s_wait_alu 0xfffe
	s_or_b32 exec_lo, exec_lo, s1
	global_wb scope:SCOPE_SE
	s_wait_dscnt 0x0
	s_barrier_signal -1
	s_barrier_wait -1
	global_inv scope:SCOPE_SE
	ds_load_2addr_b64 v[16:19], v115 offset0:126 offset1:189
	v_add_nc_u32_e32 v60, 0x400, v115
	v_add_nc_u32_e32 v70, 0x800, v115
	s_wait_dscnt 0x0
	v_dual_mul_f32 v0, v41, v17 :: v_dual_add_nc_u32 v61, 0xc00, v115
	v_mul_f32_e32 v1, v41, v16
	v_mul_f32_e32 v41, v33, v19
	;; [unrolled: 1-line block ×3, first 2 shown]
	ds_load_2addr_b64 v[28:31], v60 offset0:124 offset1:187
	ds_load_2addr_b64 v[62:65], v70 offset0:122 offset1:185
	;; [unrolled: 1-line block ×3, first 2 shown]
	v_fmac_f32_e32 v0, v40, v16
	ds_load_2addr_b64 v[4:7], v115 offset1:63
	v_fma_f32 v1, v40, v17, -v1
	v_fma_f32 v33, v32, v19, -v33
	global_wb scope:SCOPE_SE
	s_wait_dscnt 0x0
	s_barrier_signal -1
	s_barrier_wait -1
	global_inv scope:SCOPE_SE
	v_mul_f32_e32 v40, v43, v29
	v_dual_mul_f32 v16, v43, v28 :: v_dual_mul_f32 v17, v37, v62
	v_mul_f32_e32 v43, v37, v63
	s_delay_alu instid0(VALU_DEP_3) | instskip(SKIP_2) | instid1(VALU_DEP_4)
	v_dual_mul_f32 v37, v39, v67 :: v_dual_fmac_f32 v40, v42, v28
	v_mul_f32_e32 v71, v35, v31
	v_mul_f32_e32 v35, v35, v30
	v_fmac_f32_e32 v43, v36, v62
	v_mul_f32_e32 v39, v39, v66
	v_fma_f32 v42, v42, v29, -v16
	v_fma_f32 v36, v36, v63, -v17
	v_fmac_f32_e32 v41, v32, v18
	v_dual_add_f32 v16, v40, v43 :: v_dual_mul_f32 v17, v25, v64
	v_dual_add_f32 v18, v4, v0 :: v_dual_fmac_f32 v71, v34, v30
	v_fma_f32 v34, v34, v31, -v35
	s_delay_alu instid0(VALU_DEP_3)
	v_fma_f32 v16, -0.5, v16, v4
	v_mul_f32_e32 v35, v25, v65
	v_sub_f32_e32 v25, v42, v36
	v_fmac_f32_e32 v37, v38, v66
	v_fma_f32 v38, v38, v67, -v39
	v_fma_f32 v39, v24, v65, -v17
	s_delay_alu instid0(VALU_DEP_2) | instskip(NEXT) | instid1(VALU_DEP_1)
	v_sub_f32_e32 v19, v1, v38
	v_dual_add_f32 v17, v18, v40 :: v_dual_fmamk_f32 v18, v19, 0xbf737871, v16
	v_fmac_f32_e32 v16, 0x3f737871, v19
	s_delay_alu instid0(VALU_DEP_2) | instskip(SKIP_1) | instid1(VALU_DEP_4)
	v_fmac_f32_e32 v18, 0xbf167918, v25
	v_sub_f32_e32 v28, v37, v43
	v_dual_add_f32 v17, v17, v43 :: v_dual_sub_f32 v32, v0, v37
	v_fmac_f32_e32 v35, v24, v64
	v_sub_f32_e32 v24, v0, v40
	s_delay_alu instid0(VALU_DEP_1) | instskip(NEXT) | instid1(VALU_DEP_1)
	v_add_f32_e32 v30, v24, v28
	v_dual_add_f32 v29, v0, v37 :: v_dual_fmac_f32 v18, 0x3e9e377a, v30
	s_delay_alu instid0(VALU_DEP_1) | instskip(SKIP_3) | instid1(VALU_DEP_4)
	v_fma_f32 v24, -0.5, v29, v4
	v_mul_f32_e32 v31, v27, v69
	v_mul_f32_e32 v27, v27, v68
	v_sub_f32_e32 v4, v40, v0
	v_dual_add_f32 v29, v42, v36 :: v_dual_fmamk_f32 v28, v25, 0x3f737871, v24
	s_delay_alu instid0(VALU_DEP_4) | instskip(NEXT) | instid1(VALU_DEP_4)
	v_fmac_f32_e32 v31, v26, v68
	v_fma_f32 v62, v26, v69, -v27
	v_add_f32_e32 v26, v17, v37
	s_delay_alu instid0(VALU_DEP_4) | instskip(NEXT) | instid1(VALU_DEP_1)
	v_dual_fmac_f32 v28, 0xbf167918, v19 :: v_dual_sub_f32 v17, v43, v37
	v_add_f32_e32 v4, v4, v17
	v_fmac_f32_e32 v24, 0xbf737871, v25
	v_add_f32_e32 v27, v5, v1
	v_fmac_f32_e32 v16, 0x3f167918, v25
	s_delay_alu instid0(VALU_DEP_4) | instskip(NEXT) | instid1(VALU_DEP_3)
	v_fmac_f32_e32 v28, 0x3e9e377a, v4
	v_dual_fmac_f32 v24, 0x3f167918, v19 :: v_dual_add_f32 v25, v27, v42
	s_delay_alu instid0(VALU_DEP_3) | instskip(SKIP_2) | instid1(VALU_DEP_4)
	v_fmac_f32_e32 v16, 0x3e9e377a, v30
	v_sub_f32_e32 v30, v40, v43
	v_fma_f32 v17, -0.5, v29, v5
	v_fmac_f32_e32 v24, 0x3e9e377a, v4
	v_add_f32_e32 v0, v25, v36
	v_add_f32_e32 v25, v1, v38
	v_sub_f32_e32 v29, v1, v42
	v_fmamk_f32 v19, v32, 0x3f737871, v17
	v_fmac_f32_e32 v17, 0xbf737871, v32
	v_dual_add_f32 v27, v0, v38 :: v_dual_sub_f32 v0, v42, v1
	v_fma_f32 v25, -0.5, v25, v5
	v_sub_f32_e32 v1, v36, v38
	v_add_f32_e32 v5, v71, v35
	v_dual_fmac_f32 v19, 0x3f167918, v30 :: v_dual_sub_f32 v40, v41, v31
	s_delay_alu instid0(VALU_DEP_3) | instskip(NEXT) | instid1(VALU_DEP_3)
	v_add_f32_e32 v1, v0, v1
	v_fma_f32 v0, -0.5, v5, v6
	v_sub_f32_e32 v5, v33, v62
	v_sub_f32_e32 v37, v38, v36
	v_dual_sub_f32 v36, v34, v39 :: v_dual_fmac_f32 v17, 0xbf167918, v30
	v_add_f32_e32 v38, v41, v31
	s_delay_alu instid0(VALU_DEP_3) | instskip(SKIP_1) | instid1(VALU_DEP_3)
	v_dual_add_f32 v4, v29, v37 :: v_dual_fmamk_f32 v29, v30, 0xbf737871, v25
	v_dual_fmac_f32 v25, 0x3f737871, v30 :: v_dual_add_f32 v30, v6, v41
	v_fma_f32 v6, -0.5, v38, v6
	s_delay_alu instid0(VALU_DEP_3) | instskip(SKIP_1) | instid1(VALU_DEP_4)
	v_fmac_f32_e32 v19, 0x3e9e377a, v4
	v_fmac_f32_e32 v17, 0x3e9e377a, v4
	v_dual_fmac_f32 v25, 0xbf167918, v32 :: v_dual_add_f32 v4, v30, v71
	v_dual_fmamk_f32 v30, v5, 0xbf737871, v0 :: v_dual_sub_f32 v37, v31, v35
	v_sub_f32_e32 v38, v35, v31
	s_delay_alu instid0(VALU_DEP_3) | instskip(SKIP_1) | instid1(VALU_DEP_1)
	v_dual_add_f32 v4, v4, v35 :: v_dual_fmac_f32 v29, 0x3f167918, v32
	v_sub_f32_e32 v32, v41, v71
	v_dual_fmac_f32 v30, 0xbf167918, v36 :: v_dual_add_f32 v37, v32, v37
	s_delay_alu instid0(VALU_DEP_3) | instskip(SKIP_2) | instid1(VALU_DEP_4)
	v_add_f32_e32 v32, v4, v31
	v_fmamk_f32 v4, v36, 0x3f737871, v6
	v_fmac_f32_e32 v6, 0xbf737871, v36
	v_fmac_f32_e32 v30, 0x3e9e377a, v37
	;; [unrolled: 1-line block ×3, first 2 shown]
	s_delay_alu instid0(VALU_DEP_4) | instskip(NEXT) | instid1(VALU_DEP_2)
	v_fmac_f32_e32 v4, 0xbf167918, v5
	v_fmac_f32_e32 v0, 0x3f167918, v36
	v_add_f32_e32 v36, v7, v33
	v_fmac_f32_e32 v29, 0x3e9e377a, v1
	v_fmac_f32_e32 v25, 0x3e9e377a, v1
	s_delay_alu instid0(VALU_DEP_4) | instskip(SKIP_3) | instid1(VALU_DEP_4)
	v_dual_add_f32 v1, v34, v39 :: v_dual_fmac_f32 v0, 0x3e9e377a, v37
	v_sub_f32_e32 v37, v71, v41
	v_dual_fmac_f32 v6, 0x3f167918, v5 :: v_dual_add_f32 v5, v36, v34
	v_add_f32_e32 v36, v33, v62
	v_fma_f32 v1, -0.5, v1, v7
	s_delay_alu instid0(VALU_DEP_2) | instskip(SKIP_2) | instid1(VALU_DEP_4)
	v_dual_fmac_f32 v7, -0.5, v36 :: v_dual_sub_f32 v36, v33, v34
	v_dual_add_f32 v37, v37, v38 :: v_dual_sub_f32 v38, v62, v39
	v_sub_f32_e32 v35, v71, v35
	v_fmamk_f32 v31, v40, 0x3f737871, v1
	v_dual_sub_f32 v33, v34, v33 :: v_dual_sub_f32 v34, v39, v62
	s_delay_alu instid0(VALU_DEP_4)
	v_fmac_f32_e32 v4, 0x3e9e377a, v37
	v_dual_fmac_f32 v6, 0x3e9e377a, v37 :: v_dual_add_f32 v37, v5, v39
	v_dual_add_f32 v36, v36, v38 :: v_dual_fmamk_f32 v5, v35, 0xbf737871, v7
	v_fmac_f32_e32 v7, 0x3f737871, v35
	v_fmac_f32_e32 v1, 0xbf737871, v40
	v_dual_fmac_f32 v31, 0x3f167918, v35 :: v_dual_add_f32 v34, v33, v34
	s_delay_alu instid0(VALU_DEP_4) | instskip(NEXT) | instid1(VALU_DEP_4)
	v_fmac_f32_e32 v5, 0x3f167918, v40
	v_fmac_f32_e32 v7, 0xbf167918, v40
	s_delay_alu instid0(VALU_DEP_4)
	v_fmac_f32_e32 v1, 0xbf167918, v35
	v_add_f32_e32 v33, v37, v62
	v_fmac_f32_e32 v31, 0x3e9e377a, v36
	v_fmac_f32_e32 v5, 0x3e9e377a, v34
	;; [unrolled: 1-line block ×4, first 2 shown]
	ds_store_2addr_b64 v128, v[26:27], v[18:19] offset1:9
	ds_store_2addr_b64 v128, v[28:29], v[24:25] offset0:18 offset1:27
	ds_store_b64 v128, v[16:17] offset:288
	ds_store_2addr_b64 v127, v[32:33], v[30:31] offset1:9
	ds_store_2addr_b64 v127, v[4:5], v[6:7] offset0:18 offset1:27
	ds_store_b64 v127, v[0:1] offset:288
	global_wb scope:SCOPE_SE
	s_wait_dscnt 0x0
	s_barrier_signal -1
	s_barrier_wait -1
	global_inv scope:SCOPE_SE
	ds_load_2addr_b64 v[16:19], v115 offset1:90
	ds_load_2addr_b64 v[28:31], v60 offset0:52 offset1:142
	ds_load_2addr_b64 v[24:27], v70 offset0:104 offset1:194
	ds_load_b64 v[32:33], v115 offset:4320
	s_and_saveexec_b32 s1, s0
	s_cbranch_execz .LBB0_27
; %bb.26:
	ds_load_2addr_b64 v[4:7], v115 offset0:63 offset1:153
	ds_load_2addr_b64 v[0:3], v60 offset0:115 offset1:205
	;; [unrolled: 1-line block ×3, first 2 shown]
	ds_load_b64 v[113:114], v115 offset:4824
.LBB0_27:
	s_wait_alu 0xfffe
	s_or_b32 exec_lo, exec_lo, s1
	s_wait_dscnt 0x2
	v_dual_mul_f32 v34, v53, v19 :: v_dual_mul_f32 v37, v55, v28
	v_dual_mul_f32 v35, v53, v18 :: v_dual_mul_f32 v36, v55, v29
	global_wb scope:SCOPE_SE
	s_wait_dscnt 0x0
	v_fmac_f32_e32 v34, v52, v18
	v_mul_f32_e32 v38, v51, v25
	v_fma_f32 v18, v52, v19, -v35
	v_mul_f32_e32 v19, v49, v31
	v_dual_mul_f32 v35, v49, v30 :: v_dual_fmac_f32 v36, v54, v28
	v_fma_f32 v28, v54, v29, -v37
	s_delay_alu instid0(VALU_DEP_3) | instskip(NEXT) | instid1(VALU_DEP_3)
	v_dual_fmac_f32 v38, v50, v24 :: v_dual_fmac_f32 v19, v48, v30
	v_fma_f32 v29, v48, v31, -v35
	v_dual_mul_f32 v35, v45, v27 :: v_dual_mul_f32 v30, v47, v33
	v_dual_mul_f32 v37, v45, v26 :: v_dual_mul_f32 v24, v51, v24
	s_barrier_signal -1
	s_delay_alu instid0(VALU_DEP_2) | instskip(SKIP_1) | instid1(VALU_DEP_3)
	v_dual_fmac_f32 v35, v44, v26 :: v_dual_fmac_f32 v30, v46, v32
	v_mul_f32_e32 v31, v47, v32
	v_fma_f32 v24, v50, v25, -v24
	v_fma_f32 v25, v44, v27, -v37
	s_barrier_wait -1
	v_add_f32_e32 v26, v34, v30
	v_fma_f32 v31, v46, v33, -v31
	v_sub_f32_e32 v33, v36, v35
	v_add_f32_e32 v32, v28, v25
	v_dual_sub_f32 v25, v28, v25 :: v_dual_add_f32 v28, v19, v38
	v_sub_f32_e32 v19, v38, v19
	v_add_f32_e32 v27, v18, v31
	v_sub_f32_e32 v18, v18, v31
	v_dual_add_f32 v31, v36, v35 :: v_dual_sub_f32 v30, v34, v30
	v_add_f32_e32 v34, v29, v24
	v_sub_f32_e32 v24, v24, v29
	s_delay_alu instid0(VALU_DEP_3)
	v_dual_add_f32 v35, v32, v27 :: v_dual_sub_f32 v36, v31, v26
	v_add_f32_e32 v29, v31, v26
	v_dual_sub_f32 v37, v32, v27 :: v_dual_sub_f32 v26, v26, v28
	v_sub_f32_e32 v27, v27, v34
	v_dual_sub_f32 v31, v28, v31 :: v_dual_sub_f32 v32, v34, v32
	v_add_f32_e32 v39, v24, v25
	v_dual_add_f32 v28, v28, v29 :: v_dual_add_f32 v29, v34, v35
	v_add_f32_e32 v38, v19, v33
	v_dual_sub_f32 v40, v19, v33 :: v_dual_sub_f32 v33, v33, v30
	v_dual_sub_f32 v41, v24, v25 :: v_dual_sub_f32 v24, v18, v24
	s_delay_alu instid0(VALU_DEP_4)
	v_dual_sub_f32 v25, v25, v18 :: v_dual_add_f32 v16, v16, v28
	v_dual_add_f32 v18, v39, v18 :: v_dual_add_f32 v17, v17, v29
	v_dual_mul_f32 v26, 0x3f4a47b2, v26 :: v_dual_mul_f32 v27, 0x3f4a47b2, v27
	v_sub_f32_e32 v19, v30, v19
	v_add_f32_e32 v30, v38, v30
	v_dual_mul_f32 v34, 0x3d64c772, v31 :: v_dual_mul_f32 v35, 0x3d64c772, v32
	v_dual_mul_f32 v38, 0x3f08b237, v40 :: v_dual_mul_f32 v39, 0x3f08b237, v41
	v_dual_fmamk_f32 v28, v28, 0xbf955555, v16 :: v_dual_fmamk_f32 v29, v29, 0xbf955555, v17
	v_dual_fmamk_f32 v31, v31, 0x3d64c772, v26 :: v_dual_fmamk_f32 v32, v32, 0x3d64c772, v27
	v_mul_f32_e32 v40, 0xbf5ff5aa, v33
	v_fma_f32 v26, 0xbf3bfb3b, v36, -v26
	v_mul_f32_e32 v41, 0xbf5ff5aa, v25
	v_fma_f32 v34, 0x3f3bfb3b, v36, -v34
	v_fma_f32 v35, 0x3f3bfb3b, v37, -v35
	;; [unrolled: 1-line block ×3, first 2 shown]
	v_dual_fmamk_f32 v36, v19, 0xbeae86e6, v38 :: v_dual_fmamk_f32 v37, v24, 0xbeae86e6, v39
	v_fma_f32 v33, 0xbf5ff5aa, v33, -v38
	v_fma_f32 v38, 0xbf5ff5aa, v25, -v39
	;; [unrolled: 1-line block ×4, first 2 shown]
	v_dual_add_f32 v41, v31, v28 :: v_dual_add_f32 v42, v32, v29
	v_dual_add_f32 v31, v34, v28 :: v_dual_add_f32 v32, v35, v29
	v_fmac_f32_e32 v37, 0xbee1c552, v18
	v_dual_add_f32 v35, v27, v29 :: v_dual_fmac_f32 v36, 0xbee1c552, v30
	v_dual_add_f32 v34, v26, v28 :: v_dual_fmac_f32 v33, 0xbee1c552, v30
	v_fmac_f32_e32 v40, 0xbee1c552, v18
	v_fmac_f32_e32 v38, 0xbee1c552, v18
	v_dual_fmac_f32 v39, 0xbee1c552, v30 :: v_dual_add_f32 v18, v37, v41
	s_delay_alu instid0(VALU_DEP_3) | instskip(NEXT) | instid1(VALU_DEP_3)
	v_dual_sub_f32 v19, v42, v36 :: v_dual_add_f32 v24, v40, v34
	v_dual_add_f32 v27, v33, v32 :: v_dual_add_f32 v28, v38, v31
	s_delay_alu instid0(VALU_DEP_3)
	v_sub_f32_e32 v25, v35, v39
	v_dual_sub_f32 v26, v31, v38 :: v_dual_sub_f32 v29, v32, v33
	v_dual_sub_f32 v30, v34, v40 :: v_dual_add_f32 v31, v39, v35
	v_dual_sub_f32 v32, v41, v37 :: v_dual_add_f32 v33, v36, v42
	global_inv scope:SCOPE_SE
	ds_store_2addr_b64 v129, v[16:17], v[18:19] offset1:45
	ds_store_2addr_b64 v129, v[24:25], v[26:27] offset0:90 offset1:135
	ds_store_2addr_b64 v129, v[28:29], v[30:31] offset0:180 offset1:225
	ds_store_b64 v129, v[32:33] offset:2160
	s_and_saveexec_b32 s1, s0
	s_cbranch_execz .LBB0_29
; %bb.28:
	v_dual_mul_f32 v16, v13, v7 :: v_dual_mul_f32 v17, v11, v57
	v_dual_mul_f32 v18, v9, v3 :: v_dual_mul_f32 v19, v15, v1
	;; [unrolled: 1-line block ×3, first 2 shown]
	s_delay_alu instid0(VALU_DEP_2) | instskip(NEXT) | instid1(VALU_DEP_2)
	v_dual_fmac_f32 v17, v10, v56 :: v_dual_fmac_f32 v18, v8, v2
	v_dual_fmac_f32 v19, v14, v0 :: v_dual_fmac_f32 v24, v20, v58
	s_delay_alu instid0(VALU_DEP_3) | instskip(NEXT) | instid1(VALU_DEP_3)
	v_dual_fmac_f32 v16, v12, v6 :: v_dual_fmac_f32 v25, v22, v113
	v_dual_sub_f32 v26, v17, v18 :: v_dual_mul_f32 v23, v23, v113
	s_delay_alu instid0(VALU_DEP_3) | instskip(NEXT) | instid1(VALU_DEP_3)
	v_dual_mul_f32 v6, v13, v6 :: v_dual_sub_f32 v27, v19, v24
	v_dual_sub_f32 v28, v16, v25 :: v_dual_mul_f32 v21, v21, v58
	v_mul_f32_e32 v0, v15, v0
	s_delay_alu instid0(VALU_DEP_4) | instskip(NEXT) | instid1(VALU_DEP_3)
	v_fma_f32 v13, v22, v114, -v23
	v_dual_sub_f32 v29, v26, v27 :: v_dual_sub_f32 v22, v28, v26
	v_fma_f32 v6, v12, v7, -v6
	v_dual_mul_f32 v2, v9, v2 :: v_dual_mul_f32 v7, v11, v56
	s_delay_alu instid0(VALU_DEP_3)
	v_mul_f32_e32 v23, 0x3f08b237, v29
	v_fma_f32 v9, v20, v59, -v21
	v_fma_f32 v0, v14, v1, -v0
	v_add_f32_e32 v11, v13, v6
	v_fma_f32 v2, v8, v3, -v2
	v_fma_f32 v3, v10, v57, -v7
	v_fmamk_f32 v10, v22, 0xbeae86e6, v23
	v_add_f32_e32 v1, v26, v27
	v_add_f32_e32 v15, v25, v16
	s_delay_alu instid0(VALU_DEP_2) | instskip(SKIP_2) | instid1(VALU_DEP_3)
	v_dual_add_f32 v17, v18, v17 :: v_dual_add_f32 v8, v1, v28
	v_add_f32_e32 v1, v2, v3
	v_dual_add_f32 v7, v9, v0 :: v_dual_sub_f32 v2, v3, v2
	v_dual_sub_f32 v9, v0, v9 :: v_dual_fmac_f32 v10, 0xbee1c552, v8
	s_delay_alu instid0(VALU_DEP_3) | instskip(NEXT) | instid1(VALU_DEP_3)
	v_sub_f32_e32 v14, v11, v1
	v_add_f32_e32 v12, v7, v11
	v_sub_f32_e32 v20, v15, v17
	s_delay_alu instid0(VALU_DEP_3) | instskip(NEXT) | instid1(VALU_DEP_3)
	v_dual_sub_f32 v3, v2, v9 :: v_dual_mul_f32 v14, 0x3f4a47b2, v14
	v_add_f32_e32 v12, v1, v12
	v_add_f32_e32 v16, v24, v19
	s_delay_alu instid0(VALU_DEP_4) | instskip(SKIP_1) | instid1(VALU_DEP_4)
	v_dual_sub_f32 v19, v1, v7 :: v_dual_mul_f32 v20, 0x3f4a47b2, v20
	v_sub_f32_e32 v7, v7, v11
	v_add_f32_e32 v1, v5, v12
	s_delay_alu instid0(VALU_DEP_4) | instskip(NEXT) | instid1(VALU_DEP_4)
	v_add_f32_e32 v5, v16, v15
	v_dual_mul_f32 v18, 0x3d64c772, v19 :: v_dual_fmamk_f32 v19, v19, 0x3d64c772, v14
	v_mul_f32_e32 v21, 0x3f08b237, v3
	s_delay_alu instid0(VALU_DEP_3) | instskip(SKIP_2) | instid1(VALU_DEP_3)
	v_dual_fmamk_f32 v12, v12, 0xbf955555, v1 :: v_dual_add_f32 v5, v17, v5
	v_sub_f32_e32 v17, v17, v16
	v_dual_sub_f32 v24, v27, v28 :: v_dual_sub_f32 v11, v16, v15
	v_add_f32_e32 v0, v4, v5
	s_delay_alu instid0(VALU_DEP_4) | instskip(NEXT) | instid1(VALU_DEP_4)
	v_dual_sub_f32 v4, v6, v13 :: v_dual_add_f32 v13, v19, v12
	v_fmamk_f32 v6, v17, 0x3d64c772, v20
	s_delay_alu instid0(VALU_DEP_3) | instskip(NEXT) | instid1(VALU_DEP_3)
	v_fmamk_f32 v5, v5, 0xbf955555, v0
	v_dual_sub_f32 v19, v4, v2 :: v_dual_add_f32 v2, v2, v9
	v_mul_f32_e32 v17, 0x3d64c772, v17
	v_add_f32_e32 v3, v10, v13
	s_delay_alu instid0(VALU_DEP_4) | instskip(NEXT) | instid1(VALU_DEP_4)
	v_dual_add_f32 v25, v6, v5 :: v_dual_mul_f32 v6, 0xbf5ff5aa, v24
	v_add_f32_e32 v2, v2, v4
	v_sub_f32_e32 v15, v9, v4
	v_fma_f32 v9, 0xbf3bfb3b, v11, -v20
	v_fmamk_f32 v26, v19, 0xbeae86e6, v21
	v_fma_f32 v16, 0x3eae86e6, v22, -v6
	s_delay_alu instid0(VALU_DEP_3) | instskip(SKIP_1) | instid1(VALU_DEP_3)
	v_add_f32_e32 v22, v9, v5
	v_fma_f32 v9, 0xbf5ff5aa, v24, -v23
	v_fmac_f32_e32 v16, 0xbee1c552, v8
	v_fma_f32 v6, 0xbf3bfb3b, v7, -v14
	v_fma_f32 v4, 0x3f3bfb3b, v7, -v18
	v_mul_f32_e32 v14, 0xbf5ff5aa, v15
	v_fmac_f32_e32 v9, 0xbee1c552, v8
	s_delay_alu instid0(VALU_DEP_4) | instskip(SKIP_4) | instid1(VALU_DEP_4)
	v_add_f32_e32 v20, v6, v12
	v_fma_f32 v6, 0x3f3bfb3b, v11, -v17
	v_add_f32_e32 v11, v4, v12
	v_fma_f32 v14, 0x3eae86e6, v19, -v14
	v_fmac_f32_e32 v26, 0xbee1c552, v2
	v_dual_add_f32 v8, v6, v5 :: v_dual_add_f32 v5, v16, v20
	s_delay_alu instid0(VALU_DEP_3) | instskip(SKIP_4) | instid1(VALU_DEP_4)
	v_fmac_f32_e32 v14, 0xbee1c552, v2
	v_fma_f32 v15, 0xbf5ff5aa, v15, -v21
	v_sub_f32_e32 v7, v11, v9
	v_add_f32_e32 v9, v9, v11
	v_dual_sub_f32 v11, v20, v16 :: v_dual_add_f32 v12, v26, v25
	v_fmac_f32_e32 v15, 0xbee1c552, v2
	v_lshlrev_b32_e32 v17, 3, v118
	v_sub_f32_e32 v4, v22, v14
	v_sub_f32_e32 v2, v25, v26
	s_delay_alu instid0(VALU_DEP_4)
	v_add_f32_e32 v6, v15, v8
	v_dual_sub_f32 v8, v8, v15 :: v_dual_sub_f32 v13, v13, v10
	v_dual_add_f32 v10, v14, v22 :: v_dual_add_nc_u32 v15, 0x800, v17
	v_add_nc_u32_e32 v14, 0xc00, v17
	ds_store_2addr_b64 v15, v[0:1], v[12:13] offset0:59 offset1:104
	ds_store_2addr_b64 v15, v[10:11], v[8:9] offset0:149 offset1:194
	;; [unrolled: 1-line block ×3, first 2 shown]
	ds_store_b64 v17, v[2:3] offset:4680
.LBB0_29:
	s_wait_alu 0xfffe
	s_or_b32 exec_lo, exec_lo, s1
	v_add_nc_u32_e32 v0, 0x400, v115
	v_add_nc_u32_e32 v22, 0x800, v115
	;; [unrolled: 1-line block ×3, first 2 shown]
	global_wb scope:SCOPE_SE
	s_wait_dscnt 0x0
	s_barrier_signal -1
	s_barrier_wait -1
	global_inv scope:SCOPE_SE
	ds_load_2addr_b64 v[0:3], v0 offset0:124 offset1:187
	ds_load_2addr_b64 v[4:7], v22 offset0:122 offset1:185
	;; [unrolled: 1-line block ×3, first 2 shown]
	ds_load_2addr_b64 v[12:15], v115 offset1:63
	ds_load_2addr_b64 v[16:19], v115 offset0:126 offset1:189
	v_mad_co_u64_u32 v[38:39], null, s4, v116, 0
	s_mov_b32 s2, 0x1a01a01a
	s_mov_b32 s3, 0x3f5a01a0
	s_wait_dscnt 0x3
	v_mul_f32_e32 v24, v106, v5
	v_dual_mul_f32 v25, v106, v4 :: v_dual_mul_f32 v20, v104, v3
	s_wait_dscnt 0x2
	v_mul_f32_e32 v29, v110, v8
	v_mul_f32_e32 v21, v104, v2
	v_dual_mul_f32 v27, v108, v6 :: v_dual_mul_f32 v28, v110, v9
	v_fma_f32 v5, v105, v5, -v25
	v_mul_f32_e32 v26, v108, v7
	v_dual_mul_f32 v31, v112, v10 :: v_dual_fmac_f32 v24, v105, v4
	v_fma_f32 v3, v103, v3, -v21
	v_fma_f32 v21, v109, v9, -v29
	s_wait_dscnt 0x1
	v_dual_mul_f32 v30, v112, v11 :: v_dual_sub_f32 v5, v15, v5
	s_delay_alu instid0(VALU_DEP_3)
	v_dual_fmac_f32 v20, v103, v2 :: v_dual_sub_f32 v3, v13, v3
	v_fma_f32 v7, v107, v7, -v27
	v_fmac_f32_e32 v26, v107, v6
	v_fmac_f32_e32 v28, v109, v8
	v_sub_f32_e32 v4, v14, v24
	v_fma_f32 v25, v111, v11, -v31
	v_fma_f32 v11, v15, 2.0, -v5
	s_wait_dscnt 0x0
	v_sub_f32_e32 v15, v19, v21
	v_fmac_f32_e32 v30, v111, v10
	v_sub_f32_e32 v2, v12, v20
	v_fma_f32 v10, v14, 2.0, -v4
	v_dual_sub_f32 v7, v17, v7 :: v_dual_sub_f32 v6, v16, v26
	v_dual_sub_f32 v14, v18, v28 :: v_dual_sub_f32 v21, v1, v25
	v_sub_f32_e32 v20, v0, v30
	v_fma_f32 v8, v12, 2.0, -v2
	v_fma_f32 v9, v13, 2.0, -v3
	v_fma_f32 v12, v16, 2.0, -v6
	v_fma_f32 v13, v17, 2.0, -v7
	v_fma_f32 v16, v18, 2.0, -v14
	v_fma_f32 v17, v19, 2.0, -v15
	v_fma_f32 v0, v0, 2.0, -v20
	v_fma_f32 v1, v1, 2.0, -v21
	ds_store_b64 v115, v[2:3] offset:2520
	ds_store_2addr_b64 v115, v[8:9], v[10:11] offset1:63
	ds_store_2addr_b64 v22, v[4:5], v[6:7] offset0:122 offset1:185
	ds_store_2addr_b64 v115, v[12:13], v[16:17] offset0:126 offset1:189
	ds_store_b64 v115, v[0:1] offset:2016
	ds_store_2addr_b64 v23, v[14:15], v[20:21] offset0:120 offset1:183
	global_wb scope:SCOPE_SE
	s_wait_dscnt 0x0
	s_barrier_signal -1
	s_barrier_wait -1
	global_inv scope:SCOPE_SE
	ds_load_2addr_b64 v[0:3], v115 offset1:63
	ds_load_2addr_b64 v[4:7], v115 offset0:126 offset1:210
	ds_load_2addr_b64 v[8:11], v22 offset0:164 offset1:227
	s_wait_dscnt 0x2
	v_mul_f32_e32 v12, v102, v0
	s_wait_dscnt 0x0
	v_dual_mul_f32 v24, v96, v3 :: v_dual_mul_f32 v23, v98, v8
	v_dual_mul_f32 v25, v96, v2 :: v_dual_mul_f32 v16, v102, v1
	s_delay_alu instid0(VALU_DEP_3)
	v_fma_f32 v18, v101, v1, -v12
	ds_load_2addr_b64 v[12:15], v22 offset0:17 offset1:80
	v_mul_f32_e32 v22, v98, v9
	v_fmac_f32_e32 v24, v95, v2
	v_fma_f32 v26, v95, v3, -v25
	v_fmac_f32_e32 v16, v101, v0
	v_cvt_f64_f32_e32 v[18:19], v18
	v_fmac_f32_e32 v22, v97, v8
	v_fma_f32 v8, v97, v9, -v23
	v_mul_f32_e32 v32, v88, v5
	v_cvt_f64_f32_e32 v[16:17], v16
	v_mul_f32_e32 v30, v90, v11
	v_cvt_f64_f32_e32 v[2:3], v22
	v_cvt_f64_f32_e32 v[22:23], v24
	ds_load_b64 v[24:25], v115 offset:4368
	v_mul_f32_e32 v20, v100, v7
	v_cvt_f64_f32_e32 v[8:9], v8
	v_dual_mul_f32 v31, v90, v10 :: v_dual_fmac_f32 v32, v87, v4
	v_mul_f32_e32 v4, v88, v4
	v_fmac_f32_e32 v30, v89, v10
	s_wait_dscnt 0x1
	v_mul_f32_e32 v28, v86, v13
	v_dual_mul_f32 v29, v86, v12 :: v_dual_mul_f32 v34, v92, v15
	v_mul_f32_e32 v35, v92, v14
	v_fma_f32 v31, v89, v11, -v31
	s_delay_alu instid0(VALU_DEP_4) | instskip(NEXT) | instid1(VALU_DEP_4)
	v_fmac_f32_e32 v28, v85, v12
	v_fma_f32 v12, v85, v13, -v29
	v_fma_f32 v4, v87, v5, -v4
	v_fmac_f32_e32 v34, v91, v14
	v_fma_f32 v35, v91, v15, -v35
	v_cvt_f64_f32_e32 v[26:27], v26
	v_cvt_f64_f32_e32 v[10:11], v28
	;; [unrolled: 1-line block ×3, first 2 shown]
	s_wait_dscnt 0x0
	v_dual_mul_f32 v37, v94, v24 :: v_dual_fmac_f32 v20, v99, v6
	v_mul_f32_e32 v6, v100, v6
	v_mul_f32_e32 v36, v94, v25
	v_cvt_f64_f32_e32 v[28:29], v30
	s_delay_alu instid0(VALU_DEP_4)
	v_fma_f32 v37, v93, v25, -v37
	v_cvt_f64_f32_e32 v[20:21], v20
	v_fma_f32 v6, v99, v7, -v6
	v_fmac_f32_e32 v36, v93, v24
	v_cvt_f64_f32_e32 v[30:31], v31
	v_cvt_f64_f32_e32 v[32:33], v32
	;; [unrolled: 1-line block ×8, first 2 shown]
	v_mad_co_u64_u32 v[0:1], null, s6, v82, 0
	s_wait_alu 0xfffe
	v_mul_f64_e32 v[16:17], s[2:3], v[16:17]
	v_mul_f64_e32 v[18:19], s[2:3], v[18:19]
	;; [unrolled: 1-line block ×4, first 2 shown]
	v_mad_co_u64_u32 v[40:41], null, s7, v82, v[1:2]
	v_mov_b32_e32 v1, v39
	s_delay_alu instid0(VALU_DEP_1)
	v_mad_co_u64_u32 v[41:42], null, s5, v116, v[1:2]
	v_mul_f64_e32 v[2:3], s[2:3], v[2:3]
	v_mul_f64_e32 v[26:27], s[2:3], v[26:27]
	;; [unrolled: 1-line block ×4, first 2 shown]
	v_mov_b32_e32 v1, v40
	v_mov_b32_e32 v39, v41
	v_mul_f64_e32 v[28:29], s[2:3], v[28:29]
	s_delay_alu instid0(VALU_DEP_3) | instskip(SKIP_1) | instid1(VALU_DEP_4)
	v_lshlrev_b64_e32 v[0:1], 3, v[0:1]
	v_mul_f64_e32 v[20:21], s[2:3], v[20:21]
	v_lshlrev_b64_e32 v[38:39], 3, v[38:39]
	v_mul_f64_e32 v[30:31], s[2:3], v[30:31]
	v_mul_f64_e32 v[32:33], s[2:3], v[32:33]
	;; [unrolled: 1-line block ×8, first 2 shown]
	v_add_co_u32 v0, s0, s8, v0
	v_cvt_f32_f64_e32 v16, v[16:17]
	v_cvt_f32_f64_e32 v17, v[18:19]
	s_wait_alu 0xf1ff
	v_add_co_ci_u32_e64 v1, s0, s9, v1, s0
	v_add_co_u32 v0, s0, v0, v38
	s_wait_alu 0xf1ff
	s_delay_alu instid0(VALU_DEP_2)
	v_add_co_ci_u32_e64 v1, s0, v1, v39, s0
	s_mul_u64 s[0:1], s[4:5], 0xd2
	s_wait_alu 0xfffe
	s_lshl_b64 s[6:7], s[0:1], 3
	v_cvt_f32_f64_e32 v2, v[2:3]
	v_cvt_f32_f64_e32 v3, v[8:9]
	;; [unrolled: 1-line block ×12, first 2 shown]
	s_wait_alu 0xfffe
	v_add_co_u32 v6, s0, v0, s6
	s_wait_alu 0xf1ff
	v_add_co_ci_u32_e64 v7, s0, s7, v1, s0
	s_movk_i32 s0, 0xfe9b
	s_mov_b32 s1, -1
	v_cvt_f32_f64_e32 v4, v[14:15]
	s_wait_alu 0xfffe
	s_mul_u64 s[4:5], s[4:5], s[0:1]
	v_add_co_u32 v22, s0, v6, s6
	v_cvt_f32_f64_e32 v5, v[24:25]
	s_wait_alu 0xf1ff
	v_add_co_ci_u32_e64 v23, s0, s7, v7, s0
	v_cvt_f32_f64_e32 v14, v[34:35]
	v_cvt_f32_f64_e32 v15, v[36:37]
	s_wait_alu 0xfffe
	s_lshl_b64 s[4:5], s[4:5], 3
	global_store_b64 v[0:1], v[16:17], off
	s_wait_alu 0xfffe
	v_add_co_u32 v24, s0, v22, s4
	s_wait_alu 0xf1ff
	v_add_co_ci_u32_e64 v25, s0, s5, v23, s0
	s_delay_alu instid0(VALU_DEP_2) | instskip(SKIP_1) | instid1(VALU_DEP_2)
	v_add_co_u32 v26, s0, v24, s6
	s_wait_alu 0xf1ff
	v_add_co_ci_u32_e64 v27, s0, s7, v25, s0
	s_delay_alu instid0(VALU_DEP_2) | instskip(SKIP_1) | instid1(VALU_DEP_2)
	v_add_co_u32 v16, s0, v26, s6
	s_wait_alu 0xf1ff
	v_add_co_ci_u32_e64 v17, s0, s7, v27, s0
	global_store_b64 v[6:7], v[18:19], off
	v_add_co_u32 v6, s0, v16, s4
	s_wait_alu 0xf1ff
	v_add_co_ci_u32_e64 v7, s0, s5, v17, s0
	global_store_b64 v[22:23], v[2:3], off
	;; [unrolled: 4-line block ×4, first 2 shown]
	global_store_b64 v[16:17], v[12:13], off
	global_store_b64 v[6:7], v[20:21], off
	;; [unrolled: 1-line block ×4, first 2 shown]
	s_and_b32 exec_lo, exec_lo, vcc_lo
	s_cbranch_execz .LBB0_31
; %bb.30:
	s_clause 0x2
	global_load_b64 v[6:7], v[83:84], off offset:1512
	global_load_b64 v[8:9], v[83:84], off offset:3192
	;; [unrolled: 1-line block ×3, first 2 shown]
	v_add_nc_u32_e32 v2, 0x500, v115
	v_add_co_u32 v0, vcc_lo, v0, s4
	s_wait_alu 0xfffd
	v_add_co_ci_u32_e32 v1, vcc_lo, s5, v1, vcc_lo
	ds_load_2addr_b64 v[2:5], v2 offset0:29 offset1:239
	ds_load_b64 v[12:13], v115 offset:4872
	s_wait_loadcnt_dscnt 0x101
	v_dual_mul_f32 v14, v3, v7 :: v_dual_mul_f32 v15, v5, v9
	s_wait_loadcnt_dscnt 0x0
	v_dual_mul_f32 v9, v4, v9 :: v_dual_mul_f32 v16, v13, v11
	s_delay_alu instid0(VALU_DEP_2) | instskip(NEXT) | instid1(VALU_DEP_3)
	v_dual_mul_f32 v11, v12, v11 :: v_dual_fmac_f32 v14, v2, v6
	v_fmac_f32_e32 v15, v4, v8
	s_delay_alu instid0(VALU_DEP_3) | instskip(NEXT) | instid1(VALU_DEP_4)
	v_dual_mul_f32 v7, v2, v7 :: v_dual_fmac_f32 v16, v12, v10
	v_fma_f32 v8, v8, v5, -v9
	s_delay_alu instid0(VALU_DEP_4) | instskip(NEXT) | instid1(VALU_DEP_3)
	v_fma_f32 v12, v10, v13, -v11
	v_fma_f32 v6, v6, v3, -v7
	v_cvt_f64_f32_e32 v[2:3], v14
	s_delay_alu instid0(VALU_DEP_4)
	v_cvt_f64_f32_e32 v[8:9], v8
	v_cvt_f64_f32_e32 v[10:11], v16
	;; [unrolled: 1-line block ×5, first 2 shown]
	v_mul_f64_e32 v[2:3], s[2:3], v[2:3]
	v_mul_f64_e32 v[8:9], s[2:3], v[8:9]
	;; [unrolled: 1-line block ×6, first 2 shown]
	v_cvt_f32_f64_e32 v2, v[2:3]
	s_delay_alu instid0(VALU_DEP_3) | instskip(NEXT) | instid1(VALU_DEP_3)
	v_cvt_f32_f64_e32 v3, v[4:5]
	v_cvt_f32_f64_e32 v4, v[6:7]
	;; [unrolled: 1-line block ×5, first 2 shown]
	v_add_co_u32 v8, vcc_lo, v0, s6
	s_wait_alu 0xfffd
	v_add_co_ci_u32_e32 v9, vcc_lo, s7, v1, vcc_lo
	s_delay_alu instid0(VALU_DEP_2) | instskip(SKIP_1) | instid1(VALU_DEP_2)
	v_add_co_u32 v10, vcc_lo, v8, s6
	s_wait_alu 0xfffd
	v_add_co_ci_u32_e32 v11, vcc_lo, s7, v9, vcc_lo
	global_store_b64 v[0:1], v[2:3], off
	global_store_b64 v[8:9], v[4:5], off
	;; [unrolled: 1-line block ×3, first 2 shown]
.LBB0_31:
	s_nop 0
	s_sendmsg sendmsg(MSG_DEALLOC_VGPRS)
	s_endpgm
	.section	.rodata,"a",@progbits
	.p2align	6, 0x0
	.amdhsa_kernel bluestein_single_back_len630_dim1_sp_op_CI_CI
		.amdhsa_group_segment_fixed_size 5040
		.amdhsa_private_segment_fixed_size 0
		.amdhsa_kernarg_size 104
		.amdhsa_user_sgpr_count 2
		.amdhsa_user_sgpr_dispatch_ptr 0
		.amdhsa_user_sgpr_queue_ptr 0
		.amdhsa_user_sgpr_kernarg_segment_ptr 1
		.amdhsa_user_sgpr_dispatch_id 0
		.amdhsa_user_sgpr_private_segment_size 0
		.amdhsa_wavefront_size32 1
		.amdhsa_uses_dynamic_stack 0
		.amdhsa_enable_private_segment 0
		.amdhsa_system_sgpr_workgroup_id_x 1
		.amdhsa_system_sgpr_workgroup_id_y 0
		.amdhsa_system_sgpr_workgroup_id_z 0
		.amdhsa_system_sgpr_workgroup_info 0
		.amdhsa_system_vgpr_workitem_id 0
		.amdhsa_next_free_vgpr 150
		.amdhsa_next_free_sgpr 18
		.amdhsa_reserve_vcc 1
		.amdhsa_float_round_mode_32 0
		.amdhsa_float_round_mode_16_64 0
		.amdhsa_float_denorm_mode_32 3
		.amdhsa_float_denorm_mode_16_64 3
		.amdhsa_fp16_overflow 0
		.amdhsa_workgroup_processor_mode 1
		.amdhsa_memory_ordered 1
		.amdhsa_forward_progress 0
		.amdhsa_round_robin_scheduling 0
		.amdhsa_exception_fp_ieee_invalid_op 0
		.amdhsa_exception_fp_denorm_src 0
		.amdhsa_exception_fp_ieee_div_zero 0
		.amdhsa_exception_fp_ieee_overflow 0
		.amdhsa_exception_fp_ieee_underflow 0
		.amdhsa_exception_fp_ieee_inexact 0
		.amdhsa_exception_int_div_zero 0
	.end_amdhsa_kernel
	.text
.Lfunc_end0:
	.size	bluestein_single_back_len630_dim1_sp_op_CI_CI, .Lfunc_end0-bluestein_single_back_len630_dim1_sp_op_CI_CI
                                        ; -- End function
	.section	.AMDGPU.csdata,"",@progbits
; Kernel info:
; codeLenInByte = 12648
; NumSgprs: 20
; NumVgprs: 150
; ScratchSize: 0
; MemoryBound: 0
; FloatMode: 240
; IeeeMode: 1
; LDSByteSize: 5040 bytes/workgroup (compile time only)
; SGPRBlocks: 2
; VGPRBlocks: 18
; NumSGPRsForWavesPerEU: 20
; NumVGPRsForWavesPerEU: 150
; Occupancy: 9
; WaveLimiterHint : 1
; COMPUTE_PGM_RSRC2:SCRATCH_EN: 0
; COMPUTE_PGM_RSRC2:USER_SGPR: 2
; COMPUTE_PGM_RSRC2:TRAP_HANDLER: 0
; COMPUTE_PGM_RSRC2:TGID_X_EN: 1
; COMPUTE_PGM_RSRC2:TGID_Y_EN: 0
; COMPUTE_PGM_RSRC2:TGID_Z_EN: 0
; COMPUTE_PGM_RSRC2:TIDIG_COMP_CNT: 0
	.text
	.p2alignl 7, 3214868480
	.fill 96, 4, 3214868480
	.type	__hip_cuid_c813150e13902a1c,@object ; @__hip_cuid_c813150e13902a1c
	.section	.bss,"aw",@nobits
	.globl	__hip_cuid_c813150e13902a1c
__hip_cuid_c813150e13902a1c:
	.byte	0                               ; 0x0
	.size	__hip_cuid_c813150e13902a1c, 1

	.ident	"AMD clang version 19.0.0git (https://github.com/RadeonOpenCompute/llvm-project roc-6.4.0 25133 c7fe45cf4b819c5991fe208aaa96edf142730f1d)"
	.section	".note.GNU-stack","",@progbits
	.addrsig
	.addrsig_sym __hip_cuid_c813150e13902a1c
	.amdgpu_metadata
---
amdhsa.kernels:
  - .args:
      - .actual_access:  read_only
        .address_space:  global
        .offset:         0
        .size:           8
        .value_kind:     global_buffer
      - .actual_access:  read_only
        .address_space:  global
        .offset:         8
        .size:           8
        .value_kind:     global_buffer
      - .actual_access:  read_only
        .address_space:  global
        .offset:         16
        .size:           8
        .value_kind:     global_buffer
      - .actual_access:  read_only
        .address_space:  global
        .offset:         24
        .size:           8
        .value_kind:     global_buffer
      - .actual_access:  read_only
        .address_space:  global
        .offset:         32
        .size:           8
        .value_kind:     global_buffer
      - .offset:         40
        .size:           8
        .value_kind:     by_value
      - .address_space:  global
        .offset:         48
        .size:           8
        .value_kind:     global_buffer
      - .address_space:  global
        .offset:         56
        .size:           8
        .value_kind:     global_buffer
      - .address_space:  global
        .offset:         64
        .size:           8
        .value_kind:     global_buffer
      - .address_space:  global
        .offset:         72
        .size:           8
        .value_kind:     global_buffer
      - .offset:         80
        .size:           4
        .value_kind:     by_value
      - .address_space:  global
        .offset:         88
        .size:           8
        .value_kind:     global_buffer
      - .address_space:  global
        .offset:         96
        .size:           8
        .value_kind:     global_buffer
    .group_segment_fixed_size: 5040
    .kernarg_segment_align: 8
    .kernarg_segment_size: 104
    .language:       OpenCL C
    .language_version:
      - 2
      - 0
    .max_flat_workgroup_size: 63
    .name:           bluestein_single_back_len630_dim1_sp_op_CI_CI
    .private_segment_fixed_size: 0
    .sgpr_count:     20
    .sgpr_spill_count: 0
    .symbol:         bluestein_single_back_len630_dim1_sp_op_CI_CI.kd
    .uniform_work_group_size: 1
    .uses_dynamic_stack: false
    .vgpr_count:     150
    .vgpr_spill_count: 0
    .wavefront_size: 32
    .workgroup_processor_mode: 1
amdhsa.target:   amdgcn-amd-amdhsa--gfx1201
amdhsa.version:
  - 1
  - 2
...

	.end_amdgpu_metadata
